;; amdgpu-corpus repo=ROCm/rocFFT kind=compiled arch=gfx950 opt=O3
	.text
	.amdgcn_target "amdgcn-amd-amdhsa--gfx950"
	.amdhsa_code_object_version 6
	.protected	bluestein_single_back_len2197_dim1_dp_op_CI_CI ; -- Begin function bluestein_single_back_len2197_dim1_dp_op_CI_CI
	.globl	bluestein_single_back_len2197_dim1_dp_op_CI_CI
	.p2align	8
	.type	bluestein_single_back_len2197_dim1_dp_op_CI_CI,@function
bluestein_single_back_len2197_dim1_dp_op_CI_CI: ; @bluestein_single_back_len2197_dim1_dp_op_CI_CI
; %bb.0:
	s_load_dwordx4 s[16:19], s[0:1], 0x28
	v_mul_u32_u24_e32 v1, 0x184, v0
	v_add_u32_sdwa v196, s2, v1 dst_sel:DWORD dst_unused:UNUSED_PAD src0_sel:DWORD src1_sel:WORD_1
	v_mov_b32_e32 v197, 0
	s_waitcnt lgkmcnt(0)
	v_cmp_gt_u64_e32 vcc, s[16:17], v[196:197]
	s_and_saveexec_b64 s[2:3], vcc
	s_cbranch_execz .LBB0_2
; %bb.1:
	s_load_dwordx4 s[12:15], s[0:1], 0x18
	s_load_dwordx4 s[8:11], s[0:1], 0x0
	v_mov_b32_e32 v2, s18
	v_mov_b32_e32 v3, s19
	s_mov_b32 s16, 0x4267c47c
	s_waitcnt lgkmcnt(0)
	s_load_dwordx4 s[4:7], s[14:15], 0x0
	s_mov_b32 s22, 0x24c2f84
	s_load_dwordx4 s[12:15], s[12:13], 0x0
	s_mov_b32 s28, 0x4bc48dbf
	s_mov_b32 s17, 0xbfddbe06
	s_waitcnt lgkmcnt(0)
	v_mad_u64_u32 v[198:199], s[2:3], s6, v196, 0
	v_mad_u64_u32 v[4:5], s[2:3], s14, v196, 0
	v_mov_b32_e32 v6, v199
	v_mad_u64_u32 v[200:201], s[2:3], s7, v196, v[6:7]
	v_mov_b32_e32 v6, v5
	v_mad_u64_u32 v[6:7], s[2:3], s15, v196, v[6:7]
	s_movk_i32 s2, 0xa9
	s_nop 0
	v_mul_lo_u16_sdwa v1, v1, s2 dst_sel:DWORD dst_unused:UNUSED_PAD src0_sel:WORD_1 src1_sel:DWORD
	v_sub_u16_e32 v201, v0, v1
	v_mad_u64_u32 v[0:1], s[2:3], s12, v201, 0
	v_mov_b32_e32 v5, v6
	v_mov_b32_e32 v6, v1
	v_mad_u64_u32 v[6:7], s[2:3], s13, v201, v[6:7]
	v_mov_b32_e32 v1, v6
	v_lshl_add_u64 v[2:3], v[4:5], 4, v[2:3]
	v_lshlrev_b32_e32 v196, 4, v201
	v_lshl_add_u64 v[0:1], v[0:1], 4, v[2:3]
	v_lshl_add_u64 v[180:181], s[8:9], 0, v[196:197]
	v_mov_b32_e32 v197, 0xa90
	global_load_dwordx4 v[52:55], v[0:1], off
	v_mad_u64_u32 v[0:1], s[2:3], s12, v197, v[0:1]
	s_mul_i32 s2, s13, 0xa90
	s_nop 0
	v_add_u32_e32 v1, s2, v1
	global_load_dwordx4 v[48:51], v196, s[8:9]
	global_load_dwordx4 v[28:31], v196, s[8:9] offset:2704
	v_mad_u64_u32 v[2:3], s[6:7], s12, v197, v[0:1]
	v_add_u32_e32 v3, s2, v3
	s_movk_i32 s3, 0x1000
	global_load_dwordx4 v[60:63], v[0:1], off
	global_load_dwordx4 v[56:59], v[2:3], off
	v_add_co_u32_e32 v0, vcc, s3, v180
	v_mad_u64_u32 v[2:3], s[6:7], s12, v197, v[2:3]
	s_nop 0
	v_addc_co_u32_e32 v1, vcc, 0, v181, vcc
	v_add_u32_e32 v3, s2, v3
	global_load_dwordx4 v[40:43], v[0:1], off offset:1312
	global_load_dwordx4 v[24:27], v[0:1], off offset:4016
	v_mad_u64_u32 v[0:1], s[6:7], s12, v197, v[2:3]
	s_movk_i32 s3, 0x2000
	v_add_u32_e32 v1, s2, v1
	global_load_dwordx4 v[68:71], v[2:3], off
	global_load_dwordx4 v[64:67], v[0:1], off
	v_add_co_u32_e32 v2, vcc, s3, v180
	v_mad_u64_u32 v[0:1], s[6:7], s12, v197, v[0:1]
	s_nop 0
	v_addc_co_u32_e32 v3, vcc, 0, v181, vcc
	s_movk_i32 s3, 0x3000
	v_add_u32_e32 v1, s2, v1
	v_add_co_u32_e32 v4, vcc, s3, v180
	global_load_dwordx4 v[72:75], v[0:1], off
	s_nop 0
	v_addc_co_u32_e32 v5, vcc, 0, v181, vcc
	global_load_dwordx4 v[44:47], v[2:3], off offset:2624
	global_load_dwordx4 v[20:23], v[4:5], off offset:1232
	v_mad_u64_u32 v[0:1], s[6:7], s12, v197, v[0:1]
	v_add_u32_e32 v1, s2, v1
	global_load_dwordx4 v[76:79], v[0:1], off
	v_mad_u64_u32 v[0:1], s[6:7], s12, v197, v[0:1]
	s_movk_i32 s3, 0x4000
	v_add_u32_e32 v1, s2, v1
	v_add_co_u32_e32 v2, vcc, s3, v180
	global_load_dwordx4 v[80:83], v[0:1], off
	s_nop 0
	v_addc_co_u32_e32 v3, vcc, 0, v181, vcc
	global_load_dwordx4 v[36:39], v[4:5], off offset:3936
	global_load_dwordx4 v[16:19], v[2:3], off offset:2544
	v_mad_u64_u32 v[0:1], s[6:7], s12, v197, v[0:1]
	v_add_u32_e32 v1, s2, v1
	global_load_dwordx4 v[84:87], v[0:1], off
	s_movk_i32 s3, 0x5000
	v_mad_u64_u32 v[0:1], s[6:7], s12, v197, v[0:1]
	v_add_co_u32_e32 v2, vcc, s3, v180
	v_add_u32_e32 v1, s2, v1
	s_nop 0
	v_addc_co_u32_e32 v3, vcc, 0, v181, vcc
	global_load_dwordx4 v[88:91], v[0:1], off
	global_load_dwordx4 v[32:35], v[2:3], off offset:1152
	global_load_dwordx4 v[12:15], v[2:3], off offset:3856
	s_movk_i32 s3, 0x6000
	v_mad_u64_u32 v[4:5], s[6:7], s12, v197, v[0:1]
	v_add_co_u32_e32 v0, vcc, s3, v180
	v_add_u32_e32 v5, s2, v5
	s_nop 0
	v_addc_co_u32_e32 v1, vcc, 0, v181, vcc
	s_movk_i32 s3, 0x7000
	global_load_dwordx4 v[92:95], v[4:5], off
	v_mad_u64_u32 v[8:9], s[6:7], s12, v197, v[4:5]
	global_load_dwordx4 v[0:3], v[0:1], off offset:2464
	v_add_co_u32_e32 v104, vcc, s3, v180
	v_add_u32_e32 v9, s2, v9
	s_nop 0
	v_addc_co_u32_e32 v105, vcc, 0, v181, vcc
	global_load_dwordx4 v[96:99], v[8:9], off
	global_load_dwordx4 v[4:7], v[104:105], off offset:1072
	v_mad_u64_u32 v[106:107], s[6:7], s12, v197, v[8:9]
	v_add_u32_e32 v107, s2, v107
	global_load_dwordx4 v[100:103], v[106:107], off
	global_load_dwordx4 v[8:11], v[104:105], off offset:3776
	s_waitcnt vmcnt(24)
	v_mul_f64 v[104:105], v[54:55], v[50:51]
	v_fmac_f64_e32 v[104:105], v[52:53], v[48:49]
	v_mul_f64 v[52:53], v[52:53], v[50:51]
	v_fma_f64 v[106:107], v[54:55], v[48:49], -v[52:53]
	s_waitcnt vmcnt(22)
	v_mul_f64 v[52:53], v[62:63], v[30:31]
	v_mul_f64 v[54:55], v[60:61], v[30:31]
	v_fmac_f64_e32 v[52:53], v[60:61], v[28:29]
	v_fma_f64 v[54:55], v[62:63], v[28:29], -v[54:55]
	ds_write_b128 v196, v[52:55] offset:2704
	s_waitcnt vmcnt(20)
	v_mul_f64 v[52:53], v[58:59], v[42:43]
	v_mul_f64 v[54:55], v[56:57], v[42:43]
	v_fmac_f64_e32 v[52:53], v[56:57], v[40:41]
	v_fma_f64 v[54:55], v[58:59], v[40:41], -v[54:55]
	ds_write_b128 v196, v[52:55] offset:5408
	;; [unrolled: 6-line block ×3, first 2 shown]
	ds_write_b128 v196, v[104:107]
	s_mov_b32 s8, 0x42a4c3d2
	s_mov_b32 s2, 0x66966769
	;; [unrolled: 1-line block ×7, first 2 shown]
	s_waitcnt vmcnt(15)
	v_mul_f64 v[52:53], v[66:67], v[46:47]
	v_mul_f64 v[54:55], v[64:65], v[46:47]
	v_fmac_f64_e32 v[52:53], v[64:65], v[44:45]
	v_fma_f64 v[54:55], v[66:67], v[44:45], -v[54:55]
	ds_write_b128 v196, v[52:55] offset:10816
	s_waitcnt vmcnt(14)
	v_mul_f64 v[52:53], v[74:75], v[22:23]
	v_mul_f64 v[54:55], v[72:73], v[22:23]
	v_fmac_f64_e32 v[52:53], v[72:73], v[20:21]
	v_fma_f64 v[54:55], v[74:75], v[20:21], -v[54:55]
	ds_write_b128 v196, v[52:55] offset:13520
	s_mov_b32 s6, 0xebaa3ed8
	s_mov_b32 s15, 0xbfedeba7
	;; [unrolled: 1-line block ×4, first 2 shown]
	s_waitcnt vmcnt(11)
	v_mul_f64 v[52:53], v[78:79], v[38:39]
	v_mul_f64 v[54:55], v[76:77], v[38:39]
	v_fmac_f64_e32 v[52:53], v[76:77], v[36:37]
	v_fma_f64 v[54:55], v[78:79], v[36:37], -v[54:55]
	ds_write_b128 v196, v[52:55] offset:16224
	s_waitcnt vmcnt(10)
	v_mul_f64 v[52:53], v[82:83], v[18:19]
	v_mul_f64 v[54:55], v[80:81], v[18:19]
	v_fmac_f64_e32 v[52:53], v[80:81], v[16:17]
	v_fma_f64 v[54:55], v[82:83], v[16:17], -v[54:55]
	ds_write_b128 v196, v[52:55] offset:18928
	s_mov_b32 s24, 0xd0032e0c
	s_mov_b32 s29, 0xbfcea1e5
	;; [unrolled: 1-line block ×3, first 2 shown]
	s_waitcnt vmcnt(7)
	v_mul_f64 v[52:53], v[86:87], v[34:35]
	v_mul_f64 v[54:55], v[84:85], v[34:35]
	v_fmac_f64_e32 v[52:53], v[84:85], v[32:33]
	v_fma_f64 v[54:55], v[86:87], v[32:33], -v[54:55]
	ds_write_b128 v196, v[52:55] offset:21632
	s_waitcnt vmcnt(6)
	v_mul_f64 v[52:53], v[90:91], v[14:15]
	v_mul_f64 v[54:55], v[88:89], v[14:15]
	v_fmac_f64_e32 v[52:53], v[88:89], v[12:13]
	v_fma_f64 v[54:55], v[90:91], v[12:13], -v[54:55]
	ds_write_b128 v196, v[52:55] offset:24336
	s_mov_b32 s19, 0x3fec55a7
	s_mov_b32 s13, 0x3fe22d96
	;; [unrolled: 1-line block ×4, first 2 shown]
	s_waitcnt vmcnt(4)
	v_mul_f64 v[52:53], v[94:95], v[2:3]
	v_mul_f64 v[54:55], v[92:93], v[2:3]
	v_fmac_f64_e32 v[52:53], v[92:93], v[0:1]
	v_fma_f64 v[54:55], v[94:95], v[0:1], -v[54:55]
	ds_write_b128 v196, v[52:55] offset:27040
	s_mov_b32 s25, 0xbfe7f3cc
	s_mov_b32 s31, 0xbfef11f4
	s_waitcnt vmcnt(2)
	v_mul_f64 v[52:53], v[98:99], v[6:7]
	v_mul_f64 v[54:55], v[96:97], v[6:7]
	v_fmac_f64_e32 v[52:53], v[96:97], v[4:5]
	v_fma_f64 v[54:55], v[98:99], v[4:5], -v[54:55]
	ds_write_b128 v196, v[52:55] offset:29744
	s_waitcnt vmcnt(0)
	v_mul_f64 v[52:53], v[102:103], v[10:11]
	v_mul_f64 v[54:55], v[100:101], v[10:11]
	v_fmac_f64_e32 v[52:53], v[100:101], v[8:9]
	v_fma_f64 v[54:55], v[102:103], v[8:9], -v[54:55]
	ds_write_b128 v196, v[52:55] offset:32448
	s_waitcnt lgkmcnt(0)
	s_barrier
	ds_read_b128 v[84:87], v196
	ds_read_b128 v[96:99], v196 offset:2704
	ds_read_b128 v[92:95], v196 offset:5408
	;; [unrolled: 1-line block ×12, first 2 shown]
	s_waitcnt lgkmcnt(11)
	v_add_f64 v[52:53], v[84:85], v[96:97]
	v_add_f64 v[54:55], v[86:87], v[98:99]
	s_waitcnt lgkmcnt(10)
	v_add_f64 v[52:53], v[52:53], v[92:93]
	v_add_f64 v[54:55], v[54:55], v[94:95]
	;; [unrolled: 3-line block ×10, first 2 shown]
	s_waitcnt lgkmcnt(1)
	v_add_f64 v[52:53], v[52:53], v[100:101]
	s_waitcnt lgkmcnt(0)
	v_add_f64 v[110:111], v[98:99], v[106:107]
	v_add_f64 v[98:99], v[98:99], -v[106:107]
	v_add_f64 v[54:55], v[54:55], v[102:103]
	v_add_f64 v[52:53], v[52:53], v[104:105]
	;; [unrolled: 1-line block ×3, first 2 shown]
	v_add_f64 v[96:97], v[96:97], -v[104:105]
	v_mul_f64 v[104:105], v[98:99], s[16:17]
	v_mul_f64 v[116:117], v[98:99], s[8:9]
	;; [unrolled: 1-line block ×6, first 2 shown]
	v_add_f64 v[54:55], v[54:55], v[106:107]
	v_fma_f64 v[106:107], v[108:109], s[18:19], -v[104:105]
	v_mul_f64 v[112:113], v[96:97], s[16:17]
	v_fmac_f64_e32 v[104:105], s[18:19], v[108:109]
	v_fma_f64 v[118:119], v[108:109], s[12:13], -v[116:117]
	v_mul_f64 v[120:121], v[96:97], s[8:9]
	v_fmac_f64_e32 v[116:117], s[12:13], v[108:109]
	;; [unrolled: 3-line block ×6, first 2 shown]
	v_add_f64 v[106:107], v[84:85], v[106:107]
	v_fma_f64 v[114:115], s[18:19], v[110:111], v[112:113]
	v_add_f64 v[104:105], v[84:85], v[104:105]
	v_fma_f64 v[112:113], v[110:111], s[18:19], -v[112:113]
	v_add_f64 v[118:119], v[84:85], v[118:119]
	v_fma_f64 v[122:123], s[12:13], v[110:111], v[120:121]
	v_add_f64 v[116:117], v[84:85], v[116:117]
	v_fma_f64 v[120:121], v[110:111], s[12:13], -v[120:121]
	;; [unrolled: 4-line block ×6, first 2 shown]
	v_add_f64 v[98:99], v[94:95], v[102:103]
	v_add_f64 v[94:95], v[94:95], -v[102:103]
	v_add_f64 v[114:115], v[86:87], v[114:115]
	v_add_f64 v[112:113], v[86:87], v[112:113]
	;; [unrolled: 1-line block ×13, first 2 shown]
	v_add_f64 v[92:93], v[92:93], -v[100:101]
	v_mul_f64 v[100:101], v[94:95], s[8:9]
	v_fma_f64 v[102:103], v[96:97], s[12:13], -v[100:101]
	v_add_f64 v[102:103], v[102:103], v[106:107]
	v_mul_f64 v[106:107], v[92:93], s[8:9]
	v_fmac_f64_e32 v[100:101], s[12:13], v[96:97]
	v_fma_f64 v[108:109], s[12:13], v[98:99], v[106:107]
	v_add_f64 v[100:101], v[100:101], v[104:105]
	v_fma_f64 v[104:105], v[98:99], s[12:13], -v[106:107]
	v_mul_f64 v[106:107], v[94:95], s[14:15]
	v_fma_f64 v[110:111], v[96:97], s[20:21], -v[106:107]
	v_fmac_f64_e32 v[106:107], s[20:21], v[96:97]
	v_add_f64 v[104:105], v[104:105], v[112:113]
	v_mul_f64 v[112:113], v[92:93], s[14:15]
	v_add_f64 v[106:107], v[106:107], v[116:117]
	v_mul_f64 v[116:117], v[94:95], s[28:29]
	v_add_f64 v[108:109], v[108:109], v[114:115]
	v_add_f64 v[110:111], v[110:111], v[118:119]
	v_fma_f64 v[114:115], s[20:21], v[98:99], v[112:113]
	v_fma_f64 v[112:113], v[98:99], s[20:21], -v[112:113]
	v_fma_f64 v[118:119], v[96:97], s[30:31], -v[116:117]
	v_fmac_f64_e32 v[116:117], s[30:31], v[96:97]
	s_mov_b32 s35, 0x3fe5384d
	s_mov_b32 s34, s22
	v_add_f64 v[112:113], v[112:113], v[120:121]
	v_mul_f64 v[120:121], v[92:93], s[28:29]
	v_add_f64 v[116:117], v[116:117], v[124:125]
	v_mul_f64 v[124:125], v[94:95], s[34:35]
	v_add_f64 v[114:115], v[114:115], v[122:123]
	v_add_f64 v[118:119], v[118:119], v[126:127]
	v_fma_f64 v[122:123], s[30:31], v[98:99], v[120:121]
	v_fma_f64 v[120:121], v[98:99], s[30:31], -v[120:121]
	v_fma_f64 v[126:127], v[96:97], s[24:25], -v[124:125]
	v_fmac_f64_e32 v[124:125], s[24:25], v[96:97]
	s_mov_b32 s27, 0x3fefc445
	s_mov_b32 s26, s2
	v_add_f64 v[120:121], v[120:121], v[128:129]
	v_mul_f64 v[128:129], v[92:93], s[34:35]
	v_add_f64 v[124:125], v[124:125], v[132:133]
	v_mul_f64 v[132:133], v[94:95], s[26:27]
	s_mov_b32 s39, 0x3fddbe06
	s_mov_b32 s38, s16
	v_add_f64 v[122:123], v[122:123], v[130:131]
	v_add_f64 v[126:127], v[126:127], v[134:135]
	v_fma_f64 v[130:131], s[24:25], v[98:99], v[128:129]
	v_fma_f64 v[128:129], v[98:99], s[24:25], -v[128:129]
	v_fma_f64 v[134:135], v[96:97], s[6:7], -v[132:133]
	v_fmac_f64_e32 v[132:133], s[6:7], v[96:97]
	v_mul_f64 v[94:95], v[94:95], s[38:39]
	v_add_f64 v[128:129], v[128:129], v[136:137]
	v_mul_f64 v[136:137], v[92:93], s[26:27]
	v_add_f64 v[132:133], v[132:133], v[140:141]
	v_fma_f64 v[140:141], v[96:97], s[18:19], -v[94:95]
	v_mul_f64 v[92:93], v[92:93], s[38:39]
	v_fmac_f64_e32 v[94:95], s[18:19], v[96:97]
	v_add_f64 v[134:135], v[134:135], v[142:143]
	v_fma_f64 v[142:143], s[18:19], v[98:99], v[92:93]
	v_add_f64 v[84:85], v[94:95], v[84:85]
	v_fma_f64 v[92:93], v[98:99], s[18:19], -v[92:93]
	v_add_f64 v[94:95], v[82:83], v[90:91]
	v_add_f64 v[82:83], v[82:83], -v[90:91]
	v_add_f64 v[86:87], v[92:93], v[86:87]
	v_add_f64 v[92:93], v[80:81], v[88:89]
	v_add_f64 v[80:81], v[80:81], -v[88:89]
	v_mul_f64 v[88:89], v[82:83], s[2:3]
	v_fma_f64 v[90:91], v[92:93], s[6:7], -v[88:89]
	v_mul_f64 v[96:97], v[80:81], s[2:3]
	v_fmac_f64_e32 v[88:89], s[6:7], v[92:93]
	v_add_f64 v[130:131], v[130:131], v[138:139]
	v_fma_f64 v[138:139], s[6:7], v[98:99], v[136:137]
	v_fma_f64 v[136:137], v[98:99], s[6:7], -v[136:137]
	v_fma_f64 v[98:99], s[6:7], v[94:95], v[96:97]
	v_add_f64 v[88:89], v[88:89], v[100:101]
	v_fma_f64 v[96:97], v[94:95], s[6:7], -v[96:97]
	v_mul_f64 v[100:101], v[82:83], s[28:29]
	v_add_f64 v[90:91], v[90:91], v[102:103]
	v_add_f64 v[96:97], v[96:97], v[104:105]
	v_fma_f64 v[102:103], v[92:93], s[30:31], -v[100:101]
	v_mul_f64 v[104:105], v[80:81], s[28:29]
	v_fmac_f64_e32 v[100:101], s[30:31], v[92:93]
	s_mov_b32 s37, 0x3fedeba7
	s_mov_b32 s36, s14
	v_add_f64 v[98:99], v[98:99], v[108:109]
	v_fma_f64 v[108:109], s[30:31], v[94:95], v[104:105]
	v_add_f64 v[100:101], v[100:101], v[106:107]
	v_fma_f64 v[104:105], v[94:95], s[30:31], -v[104:105]
	v_mul_f64 v[106:107], v[82:83], s[36:37]
	v_add_f64 v[102:103], v[102:103], v[110:111]
	v_add_f64 v[104:105], v[104:105], v[112:113]
	v_fma_f64 v[110:111], v[92:93], s[20:21], -v[106:107]
	v_mul_f64 v[112:113], v[80:81], s[36:37]
	v_fmac_f64_e32 v[106:107], s[20:21], v[92:93]
	v_add_f64 v[108:109], v[108:109], v[114:115]
	v_fma_f64 v[114:115], s[20:21], v[94:95], v[112:113]
	v_add_f64 v[106:107], v[106:107], v[116:117]
	v_fma_f64 v[112:113], v[94:95], s[20:21], -v[112:113]
	v_mul_f64 v[116:117], v[82:83], s[38:39]
	v_add_f64 v[110:111], v[110:111], v[118:119]
	v_add_f64 v[112:113], v[112:113], v[120:121]
	v_fma_f64 v[118:119], v[92:93], s[18:19], -v[116:117]
	v_mul_f64 v[120:121], v[80:81], s[38:39]
	v_fmac_f64_e32 v[116:117], s[18:19], v[92:93]
	v_add_f64 v[114:115], v[114:115], v[122:123]
	v_fma_f64 v[122:123], s[18:19], v[94:95], v[120:121]
	v_add_f64 v[116:117], v[116:117], v[124:125]
	v_fma_f64 v[120:121], v[94:95], s[18:19], -v[120:121]
	v_mul_f64 v[124:125], v[82:83], s[8:9]
	v_add_f64 v[118:119], v[118:119], v[126:127]
	v_add_f64 v[120:121], v[120:121], v[128:129]
	v_fma_f64 v[126:127], v[92:93], s[12:13], -v[124:125]
	v_mul_f64 v[128:129], v[80:81], s[8:9]
	v_mul_f64 v[80:81], v[80:81], s[22:23]
	v_add_f64 v[126:127], v[126:127], v[134:135]
	v_fmac_f64_e32 v[124:125], s[12:13], v[92:93]
	v_mul_f64 v[82:83], v[82:83], s[22:23]
	v_fma_f64 v[134:135], s[24:25], v[94:95], v[80:81]
	v_fma_f64 v[80:81], v[94:95], s[24:25], -v[80:81]
	v_add_f64 v[124:125], v[124:125], v[132:133]
	v_fma_f64 v[132:133], v[92:93], s[24:25], -v[82:83]
	v_fmac_f64_e32 v[82:83], s[24:25], v[92:93]
	v_add_f64 v[80:81], v[80:81], v[86:87]
	v_add_f64 v[86:87], v[74:75], v[78:79]
	v_add_f64 v[74:75], v[74:75], -v[78:79]
	v_add_f64 v[82:83], v[82:83], v[84:85]
	v_add_f64 v[84:85], v[72:73], v[76:77]
	v_add_f64 v[72:73], v[72:73], -v[76:77]
	v_mul_f64 v[76:77], v[74:75], s[14:15]
	v_fma_f64 v[78:79], v[84:85], s[20:21], -v[76:77]
	v_add_f64 v[78:79], v[78:79], v[90:91]
	v_mul_f64 v[90:91], v[72:73], s[14:15]
	v_fmac_f64_e32 v[76:77], s[20:21], v[84:85]
	v_fma_f64 v[92:93], s[20:21], v[86:87], v[90:91]
	v_add_f64 v[76:77], v[76:77], v[88:89]
	v_fma_f64 v[88:89], v[86:87], s[20:21], -v[90:91]
	v_mul_f64 v[90:91], v[74:75], s[34:35]
	v_add_f64 v[122:123], v[122:123], v[130:131]
	v_fma_f64 v[130:131], s[12:13], v[94:95], v[128:129]
	v_fma_f64 v[128:129], v[94:95], s[12:13], -v[128:129]
	v_fma_f64 v[94:95], v[84:85], s[24:25], -v[90:91]
	v_fmac_f64_e32 v[90:91], s[24:25], v[84:85]
	v_add_f64 v[88:89], v[88:89], v[96:97]
	v_mul_f64 v[96:97], v[72:73], s[34:35]
	v_add_f64 v[90:91], v[90:91], v[100:101]
	v_mul_f64 v[100:101], v[74:75], s[38:39]
	v_add_f64 v[92:93], v[92:93], v[98:99]
	v_add_f64 v[94:95], v[94:95], v[102:103]
	v_fma_f64 v[98:99], s[24:25], v[86:87], v[96:97]
	v_fma_f64 v[96:97], v[86:87], s[24:25], -v[96:97]
	v_fma_f64 v[102:103], v[84:85], s[18:19], -v[100:101]
	v_fmac_f64_e32 v[100:101], s[18:19], v[84:85]
	v_add_f64 v[96:97], v[96:97], v[104:105]
	v_mul_f64 v[104:105], v[72:73], s[38:39]
	v_add_f64 v[100:101], v[100:101], v[106:107]
	v_mul_f64 v[106:107], v[74:75], s[2:3]
	v_add_f64 v[98:99], v[98:99], v[108:109]
	v_add_f64 v[102:103], v[102:103], v[110:111]
	v_fma_f64 v[108:109], s[18:19], v[86:87], v[104:105]
	v_fma_f64 v[104:105], v[86:87], s[18:19], -v[104:105]
	v_fma_f64 v[110:111], v[84:85], s[6:7], -v[106:107]
	v_fmac_f64_e32 v[106:107], s[6:7], v[84:85]
	s_mov_b32 s43, 0x3fcea1e5
	s_mov_b32 s42, s28
	v_add_f64 v[104:105], v[104:105], v[112:113]
	v_mul_f64 v[112:113], v[72:73], s[2:3]
	v_add_f64 v[106:107], v[106:107], v[116:117]
	v_mul_f64 v[116:117], v[74:75], s[42:43]
	s_mov_b32 s41, 0x3fea55e2
	s_mov_b32 s40, s8
	v_add_f64 v[108:109], v[108:109], v[114:115]
	v_add_f64 v[110:111], v[110:111], v[118:119]
	v_fma_f64 v[114:115], s[6:7], v[86:87], v[112:113]
	v_fma_f64 v[112:113], v[86:87], s[6:7], -v[112:113]
	v_fma_f64 v[118:119], v[84:85], s[30:31], -v[116:117]
	v_fmac_f64_e32 v[116:117], s[30:31], v[84:85]
	v_mul_f64 v[74:75], v[74:75], s[40:41]
	v_add_f64 v[112:113], v[112:113], v[120:121]
	v_mul_f64 v[120:121], v[72:73], s[42:43]
	v_add_f64 v[116:117], v[116:117], v[124:125]
	v_fma_f64 v[124:125], v[84:85], s[12:13], -v[74:75]
	v_mul_f64 v[72:73], v[72:73], s[40:41]
	v_fmac_f64_e32 v[74:75], s[12:13], v[84:85]
	v_add_f64 v[118:119], v[118:119], v[126:127]
	v_fma_f64 v[126:127], s[12:13], v[86:87], v[72:73]
	v_add_f64 v[74:75], v[74:75], v[82:83]
	v_fma_f64 v[72:73], v[86:87], s[12:13], -v[72:73]
	v_add_f64 v[82:83], v[66:67], v[70:71]
	v_add_f64 v[66:67], v[66:67], -v[70:71]
	v_add_f64 v[72:73], v[72:73], v[80:81]
	v_add_f64 v[80:81], v[64:65], v[68:69]
	v_add_f64 v[64:65], v[64:65], -v[68:69]
	v_mul_f64 v[68:69], v[66:67], s[22:23]
	v_fma_f64 v[70:71], v[80:81], s[24:25], -v[68:69]
	v_add_f64 v[70:71], v[70:71], v[78:79]
	v_mul_f64 v[78:79], v[64:65], s[22:23]
	v_fmac_f64_e32 v[68:69], s[24:25], v[80:81]
	v_fma_f64 v[84:85], s[24:25], v[82:83], v[78:79]
	v_add_f64 v[68:69], v[68:69], v[76:77]
	v_fma_f64 v[76:77], v[82:83], s[24:25], -v[78:79]
	v_mul_f64 v[78:79], v[66:67], s[26:27]
	v_add_f64 v[114:115], v[114:115], v[122:123]
	v_fma_f64 v[122:123], s[30:31], v[86:87], v[120:121]
	v_fma_f64 v[120:121], v[86:87], s[30:31], -v[120:121]
	v_fma_f64 v[86:87], v[80:81], s[6:7], -v[78:79]
	v_fmac_f64_e32 v[78:79], s[6:7], v[80:81]
	v_add_f64 v[78:79], v[78:79], v[90:91]
	v_mul_f64 v[90:91], v[66:67], s[8:9]
	v_add_f64 v[76:77], v[76:77], v[88:89]
	v_add_f64 v[86:87], v[86:87], v[94:95]
	v_mul_f64 v[88:89], v[64:65], s[26:27]
	v_fma_f64 v[94:95], v[80:81], s[12:13], -v[90:91]
	v_fmac_f64_e32 v[90:91], s[12:13], v[80:81]
	v_add_f64 v[84:85], v[84:85], v[92:93]
	v_fma_f64 v[92:93], s[6:7], v[82:83], v[88:89]
	v_fma_f64 v[88:89], v[82:83], s[6:7], -v[88:89]
	v_add_f64 v[90:91], v[90:91], v[100:101]
	v_mul_f64 v[100:101], v[66:67], s[42:43]
	v_add_f64 v[88:89], v[88:89], v[96:97]
	v_add_f64 v[94:95], v[94:95], v[102:103]
	v_mul_f64 v[96:97], v[64:65], s[8:9]
	v_fma_f64 v[102:103], v[80:81], s[30:31], -v[100:101]
	v_fmac_f64_e32 v[100:101], s[30:31], v[80:81]
	v_add_f64 v[138:139], v[138:139], v[146:147]
	v_add_f64 v[140:141], v[140:141], v[148:149]
	;; [unrolled: 1-line block ×3, first 2 shown]
	v_fma_f64 v[98:99], s[12:13], v[82:83], v[96:97]
	v_fma_f64 v[96:97], v[82:83], s[12:13], -v[96:97]
	v_add_f64 v[100:101], v[100:101], v[106:107]
	v_mul_f64 v[106:107], v[66:67], s[38:39]
	v_add_f64 v[136:137], v[136:137], v[144:145]
	v_add_f64 v[130:131], v[130:131], v[138:139]
	;; [unrolled: 1-line block ×5, first 2 shown]
	v_mul_f64 v[104:105], v[64:65], s[42:43]
	v_fma_f64 v[110:111], v[80:81], s[18:19], -v[106:107]
	v_fmac_f64_e32 v[106:107], s[18:19], v[80:81]
	v_mul_f64 v[66:67], v[66:67], s[14:15]
	v_add_f64 v[142:143], v[142:143], v[150:151]
	v_add_f64 v[128:129], v[128:129], v[136:137]
	;; [unrolled: 1-line block ×5, first 2 shown]
	v_fma_f64 v[108:109], s[30:31], v[82:83], v[104:105]
	v_fma_f64 v[104:105], v[82:83], s[30:31], -v[104:105]
	v_add_f64 v[106:107], v[106:107], v[116:117]
	v_fma_f64 v[116:117], v[80:81], s[20:21], -v[66:67]
	v_add_f64 v[130:131], v[58:59], -v[62:63]
	v_add_f64 v[134:135], v[134:135], v[142:143]
	v_add_f64 v[120:121], v[120:121], v[128:129]
	;; [unrolled: 1-line block ×3, first 2 shown]
	v_mul_f64 v[112:113], v[64:65], s[38:39]
	v_add_f64 v[116:117], v[116:117], v[124:125]
	v_mul_f64 v[64:65], v[64:65], s[14:15]
	v_add_f64 v[124:125], v[56:57], v[60:61]
	v_add_f64 v[128:129], v[56:57], -v[60:61]
	v_mul_f64 v[60:61], v[130:131], s[28:29]
	v_add_f64 v[126:127], v[126:127], v[134:135]
	v_add_f64 v[110:111], v[110:111], v[118:119]
	v_fma_f64 v[118:119], s[20:21], v[82:83], v[64:65]
	v_fma_f64 v[56:57], v[124:125], s[30:31], -v[60:61]
	v_fmac_f64_e32 v[60:61], s[30:31], v[124:125]
	v_add_f64 v[108:109], v[108:109], v[114:115]
	v_fma_f64 v[114:115], s[18:19], v[82:83], v[112:113]
	v_add_f64 v[118:119], v[118:119], v[126:127]
	v_fma_f64 v[64:65], v[82:83], s[20:21], -v[64:65]
	v_add_f64 v[126:127], v[58:59], v[62:63]
	v_mul_f64 v[62:63], v[128:129], s[28:29]
	v_add_f64 v[60:61], v[60:61], v[68:69]
	v_mul_f64 v[68:69], v[130:131], s[38:39]
	v_add_f64 v[114:115], v[114:115], v[122:123]
	v_add_f64 v[122:123], v[64:65], v[72:73]
	v_fma_f64 v[58:59], s[30:31], v[126:127], v[62:63]
	v_fma_f64 v[62:63], v[126:127], s[30:31], -v[62:63]
	v_fma_f64 v[64:65], v[124:125], s[18:19], -v[68:69]
	;; [unrolled: 1-line block ×3, first 2 shown]
	v_fmac_f64_e32 v[66:67], s[20:21], v[80:81]
	v_add_f64 v[56:57], v[56:57], v[70:71]
	v_add_f64 v[58:59], v[58:59], v[84:85]
	;; [unrolled: 1-line block ×4, first 2 shown]
	v_mul_f64 v[70:71], v[128:129], s[38:39]
	v_fmac_f64_e32 v[68:69], s[18:19], v[124:125]
	v_mul_f64 v[76:77], v[130:131], s[22:23]
	v_mul_f64 v[84:85], v[130:131], s[40:41]
	;; [unrolled: 1-line block ×3, first 2 shown]
	v_add_f64 v[112:113], v[112:113], v[120:121]
	v_add_f64 v[120:121], v[66:67], v[74:75]
	v_fma_f64 v[66:67], s[18:19], v[126:127], v[70:71]
	v_add_f64 v[68:69], v[68:69], v[78:79]
	v_fma_f64 v[72:73], v[124:125], s[24:25], -v[76:77]
	v_mul_f64 v[78:79], v[128:129], s[22:23]
	v_fma_f64 v[80:81], v[124:125], s[12:13], -v[84:85]
	v_fma_f64 v[82:83], s[12:13], v[126:127], v[86:87]
	v_fmac_f64_e32 v[84:85], s[12:13], v[124:125]
	v_fma_f64 v[86:87], v[126:127], s[12:13], -v[86:87]
	v_add_f64 v[66:67], v[66:67], v[92:93]
	v_fma_f64 v[70:71], v[126:127], s[18:19], -v[70:71]
	v_add_f64 v[72:73], v[72:73], v[94:95]
	v_fma_f64 v[74:75], s[24:25], v[126:127], v[78:79]
	v_fmac_f64_e32 v[76:77], s[24:25], v[124:125]
	v_fma_f64 v[78:79], v[126:127], s[24:25], -v[78:79]
	v_add_f64 v[80:81], v[80:81], v[102:103]
	v_add_f64 v[84:85], v[84:85], v[100:101]
	;; [unrolled: 1-line block ×3, first 2 shown]
	v_mul_f64 v[92:93], v[130:131], s[14:15]
	v_mul_f64 v[94:95], v[128:129], s[14:15]
	;; [unrolled: 1-line block ×4, first 2 shown]
	v_mul_lo_u16_e32 v104, 13, v201
	v_add_f64 v[70:71], v[70:71], v[88:89]
	v_add_f64 v[74:75], v[74:75], v[98:99]
	;; [unrolled: 1-line block ×4, first 2 shown]
	v_fma_f64 v[88:89], v[124:125], s[20:21], -v[92:93]
	v_fma_f64 v[90:91], s[20:21], v[126:127], v[94:95]
	v_fmac_f64_e32 v[92:93], s[20:21], v[124:125]
	v_fma_f64 v[94:95], v[126:127], s[20:21], -v[94:95]
	v_fma_f64 v[96:97], v[124:125], s[6:7], -v[100:101]
	v_fma_f64 v[98:99], s[6:7], v[126:127], v[102:103]
	v_fmac_f64_e32 v[100:101], s[6:7], v[124:125]
	v_fma_f64 v[102:103], v[126:127], s[6:7], -v[102:103]
	v_lshlrev_b32_e32 v199, 4, v104
	s_movk_i32 s33, 0x4f
	v_add_f64 v[82:83], v[82:83], v[108:109]
	v_add_f64 v[88:89], v[88:89], v[110:111]
	;; [unrolled: 1-line block ×9, first 2 shown]
	s_barrier
	ds_write_b128 v199, v[52:55]
	ds_write_b128 v199, v[56:59] offset:16
	ds_write_b128 v199, v[64:67] offset:32
	;; [unrolled: 1-line block ×12, first 2 shown]
	v_mul_lo_u16_sdwa v52, v201, s33 dst_sel:DWORD dst_unused:UNUSED_PAD src0_sel:BYTE_0 src1_sel:DWORD
	v_lshrrev_b16_e32 v152, 10, v52
	v_mul_lo_u16_e32 v52, 13, v152
	v_sub_u16_e32 v52, v201, v52
	v_and_b32_e32 v153, 0xff, v52
	v_mul_u32_u24_e32 v52, 12, v153
	v_lshlrev_b32_e32 v100, 4, v52
	s_waitcnt lgkmcnt(0)
	s_barrier
	global_load_dwordx4 v[64:67], v100, s[10:11]
	global_load_dwordx4 v[60:63], v100, s[10:11] offset:16
	global_load_dwordx4 v[56:59], v100, s[10:11] offset:32
	;; [unrolled: 1-line block ×11, first 2 shown]
	ds_read_b128 v[104:107], v196
	ds_read_b128 v[100:103], v196 offset:2704
	ds_read_b128 v[108:111], v196 offset:5408
	;; [unrolled: 1-line block ×12, first 2 shown]
	s_waitcnt lgkmcnt(0)
	s_barrier
	s_movk_i32 s33, 0xc0
	s_load_dwordx2 s[0:1], s[0:1], 0x38
	s_waitcnt vmcnt(11)
	v_mul_f64 v[124:125], v[102:103], v[66:67]
	v_fma_f64 v[166:167], v[100:101], v[64:65], -v[124:125]
	v_mul_f64 v[168:169], v[100:101], v[66:67]
	s_waitcnt vmcnt(10)
	v_mul_f64 v[100:101], v[110:111], v[62:63]
	v_fma_f64 v[142:143], v[108:109], v[60:61], -v[100:101]
	s_waitcnt vmcnt(9)
	v_mul_f64 v[100:101], v[114:115], v[58:59]
	v_fma_f64 v[134:135], v[112:113], v[56:57], -v[100:101]
	;; [unrolled: 3-line block ×3, first 2 shown]
	v_mul_f64 v[124:125], v[116:117], v[54:55]
	s_waitcnt vmcnt(7)
	v_mul_f64 v[100:101], v[122:123], v[82:83]
	v_mul_f64 v[140:141], v[108:109], v[62:63]
	v_fmac_f64_e32 v[124:125], v[118:119], v[52:53]
	v_fma_f64 v[118:119], v[120:121], v[80:81], -v[100:101]
	s_waitcnt vmcnt(6)
	v_mul_f64 v[100:101], v[130:131], v[78:79]
	v_fmac_f64_e32 v[140:141], v[110:111], v[60:61]
	v_mul_f64 v[132:133], v[112:113], v[58:59]
	v_fma_f64 v[110:111], v[128:129], v[76:77], -v[100:101]
	s_waitcnt vmcnt(5)
	v_mul_f64 v[100:101], v[138:139], v[74:75]
	v_fmac_f64_e32 v[132:133], v[114:115], v[56:57]
	v_mul_f64 v[116:117], v[120:121], v[82:83]
	;; [unrolled: 5-line block ×4, first 2 shown]
	v_fma_f64 v[130:131], v[148:149], v[96:97], -v[100:101]
	s_waitcnt vmcnt(2)
	v_mul_f64 v[100:101], v[156:157], v[94:95]
	v_fmac_f64_e32 v[168:169], v[102:103], v[64:65]
	v_fmac_f64_e32 v[112:113], v[138:139], v[72:73]
	v_fma_f64 v[138:139], v[154:155], v[92:93], -v[100:101]
	s_waitcnt vmcnt(1)
	v_mul_f64 v[100:101], v[160:161], v[90:91]
	v_mul_f64 v[120:121], v[144:145], v[70:71]
	v_fma_f64 v[144:145], v[158:159], v[88:89], -v[100:101]
	s_waitcnt vmcnt(0)
	v_mul_f64 v[100:101], v[164:165], v[86:87]
	v_add_f64 v[102:103], v[106:107], v[168:169]
	v_mul_f64 v[128:129], v[148:149], v[98:99]
	v_fma_f64 v[148:149], v[162:163], v[84:85], -v[100:101]
	v_add_f64 v[100:101], v[104:105], v[166:167]
	v_add_f64 v[102:103], v[102:103], v[140:141]
	;; [unrolled: 1-line block ×10, first 2 shown]
	v_fmac_f64_e32 v[120:121], v[146:147], v[68:69]
	v_add_f64 v[100:101], v[100:101], v[110:111]
	v_add_f64 v[102:103], v[102:103], v[112:113]
	v_fmac_f64_e32 v[128:129], v[150:151], v[96:97]
	v_mul_f64 v[136:137], v[154:155], v[94:95]
	v_add_f64 v[100:101], v[100:101], v[114:115]
	v_add_f64 v[102:103], v[102:103], v[120:121]
	v_fmac_f64_e32 v[136:137], v[156:157], v[92:93]
	v_mul_f64 v[146:147], v[158:159], v[90:91]
	v_add_f64 v[100:101], v[100:101], v[122:123]
	v_add_f64 v[102:103], v[102:103], v[128:129]
	v_fmac_f64_e32 v[146:147], v[160:161], v[88:89]
	v_mul_f64 v[150:151], v[162:163], v[86:87]
	v_add_f64 v[100:101], v[100:101], v[130:131]
	v_add_f64 v[102:103], v[102:103], v[136:137]
	v_fmac_f64_e32 v[150:151], v[164:165], v[84:85]
	v_add_f64 v[100:101], v[100:101], v[138:139]
	v_add_f64 v[102:103], v[102:103], v[146:147]
	;; [unrolled: 1-line block ×5, first 2 shown]
	v_add_f64 v[150:151], v[168:169], -v[150:151]
	v_add_f64 v[100:101], v[100:101], v[148:149]
	v_add_f64 v[154:155], v[166:167], v[148:149]
	v_add_f64 v[148:149], v[166:167], -v[148:149]
	v_mul_f64 v[158:159], v[150:151], s[16:17]
	v_mul_f64 v[166:167], v[150:151], s[8:9]
	;; [unrolled: 1-line block ×6, first 2 shown]
	v_fma_f64 v[160:161], v[154:155], s[18:19], -v[158:159]
	v_mul_f64 v[162:163], v[148:149], s[16:17]
	v_fmac_f64_e32 v[158:159], s[18:19], v[154:155]
	v_fma_f64 v[168:169], v[154:155], s[12:13], -v[166:167]
	v_mul_f64 v[170:171], v[148:149], s[8:9]
	v_fmac_f64_e32 v[166:167], s[12:13], v[154:155]
	;; [unrolled: 3-line block ×6, first 2 shown]
	v_add_f64 v[160:161], v[104:105], v[160:161]
	v_fma_f64 v[164:165], s[18:19], v[156:157], v[162:163]
	v_add_f64 v[158:159], v[104:105], v[158:159]
	v_fma_f64 v[162:163], v[156:157], s[18:19], -v[162:163]
	v_add_f64 v[168:169], v[104:105], v[168:169]
	v_fma_f64 v[172:173], s[12:13], v[156:157], v[170:171]
	v_add_f64 v[166:167], v[104:105], v[166:167]
	v_fma_f64 v[170:171], v[156:157], s[12:13], -v[170:171]
	;; [unrolled: 4-line block ×6, first 2 shown]
	v_add_f64 v[150:151], v[140:141], v[146:147]
	v_add_f64 v[140:141], v[140:141], -v[146:147]
	v_add_f64 v[164:165], v[106:107], v[164:165]
	v_add_f64 v[162:163], v[106:107], v[162:163]
	;; [unrolled: 1-line block ×13, first 2 shown]
	v_add_f64 v[142:143], v[142:143], -v[144:145]
	v_mul_f64 v[144:145], v[140:141], s[8:9]
	v_fma_f64 v[146:147], v[148:149], s[12:13], -v[144:145]
	v_fmac_f64_e32 v[144:145], s[12:13], v[148:149]
	v_mul_f64 v[154:155], v[142:143], s[8:9]
	v_add_f64 v[144:145], v[144:145], v[158:159]
	v_mul_f64 v[158:159], v[140:141], s[14:15]
	v_add_f64 v[146:147], v[146:147], v[160:161]
	v_fma_f64 v[156:157], s[12:13], v[150:151], v[154:155]
	v_fma_f64 v[154:155], v[150:151], s[12:13], -v[154:155]
	v_fma_f64 v[160:161], v[148:149], s[20:21], -v[158:159]
	v_fmac_f64_e32 v[158:159], s[20:21], v[148:149]
	v_add_f64 v[154:155], v[154:155], v[162:163]
	v_mul_f64 v[162:163], v[142:143], s[14:15]
	v_add_f64 v[158:159], v[158:159], v[166:167]
	v_mul_f64 v[166:167], v[140:141], s[28:29]
	v_add_f64 v[156:157], v[156:157], v[164:165]
	v_add_f64 v[160:161], v[160:161], v[168:169]
	v_fma_f64 v[164:165], s[20:21], v[150:151], v[162:163]
	v_fma_f64 v[162:163], v[150:151], s[20:21], -v[162:163]
	v_fma_f64 v[168:169], v[148:149], s[30:31], -v[166:167]
	v_fmac_f64_e32 v[166:167], s[30:31], v[148:149]
	v_add_f64 v[162:163], v[162:163], v[170:171]
	v_mul_f64 v[170:171], v[142:143], s[28:29]
	v_add_f64 v[166:167], v[166:167], v[174:175]
	v_mul_f64 v[174:175], v[140:141], s[34:35]
	v_add_f64 v[164:165], v[164:165], v[172:173]
	;; [unrolled: 10-line block ×3, first 2 shown]
	v_add_f64 v[176:177], v[176:177], v[186:187]
	v_fma_f64 v[182:183], s[24:25], v[150:151], v[178:179]
	v_fma_f64 v[178:179], v[150:151], s[24:25], -v[178:179]
	v_fma_f64 v[186:187], v[148:149], s[6:7], -v[184:185]
	v_fmac_f64_e32 v[184:185], s[6:7], v[148:149]
	v_mul_f64 v[140:141], v[140:141], s[38:39]
	v_add_f64 v[178:179], v[178:179], v[188:189]
	v_mul_f64 v[188:189], v[142:143], s[26:27]
	v_add_f64 v[184:185], v[184:185], v[192:193]
	v_fma_f64 v[192:193], v[148:149], s[18:19], -v[140:141]
	v_mul_f64 v[142:143], v[142:143], s[38:39]
	v_fmac_f64_e32 v[140:141], s[18:19], v[148:149]
	v_add_f64 v[186:187], v[186:187], v[194:195]
	v_fma_f64 v[194:195], s[18:19], v[150:151], v[142:143]
	v_add_f64 v[104:105], v[140:141], v[104:105]
	v_fma_f64 v[140:141], v[150:151], s[18:19], -v[142:143]
	v_add_f64 v[142:143], v[132:133], v[136:137]
	v_add_f64 v[132:133], v[132:133], -v[136:137]
	v_add_f64 v[106:107], v[140:141], v[106:107]
	v_add_f64 v[140:141], v[134:135], v[138:139]
	v_mul_f64 v[136:137], v[132:133], s[2:3]
	v_add_f64 v[134:135], v[134:135], -v[138:139]
	v_fma_f64 v[138:139], v[140:141], s[6:7], -v[136:137]
	v_add_f64 v[138:139], v[138:139], v[146:147]
	v_mul_f64 v[146:147], v[134:135], s[2:3]
	v_fmac_f64_e32 v[136:137], s[6:7], v[140:141]
	v_fma_f64 v[148:149], s[6:7], v[142:143], v[146:147]
	v_add_f64 v[136:137], v[136:137], v[144:145]
	v_fma_f64 v[144:145], v[142:143], s[6:7], -v[146:147]
	v_mul_f64 v[146:147], v[132:133], s[28:29]
	v_add_f64 v[182:183], v[182:183], v[190:191]
	v_fma_f64 v[190:191], s[6:7], v[150:151], v[188:189]
	v_fma_f64 v[188:189], v[150:151], s[6:7], -v[188:189]
	v_fma_f64 v[150:151], v[140:141], s[30:31], -v[146:147]
	v_fmac_f64_e32 v[146:147], s[30:31], v[140:141]
	v_add_f64 v[144:145], v[144:145], v[154:155]
	v_mul_f64 v[154:155], v[134:135], s[28:29]
	v_add_f64 v[146:147], v[146:147], v[158:159]
	v_mul_f64 v[158:159], v[132:133], s[36:37]
	v_add_f64 v[148:149], v[148:149], v[156:157]
	v_add_f64 v[150:151], v[150:151], v[160:161]
	v_fma_f64 v[156:157], s[30:31], v[142:143], v[154:155]
	v_fma_f64 v[154:155], v[142:143], s[30:31], -v[154:155]
	v_fma_f64 v[160:161], v[140:141], s[20:21], -v[158:159]
	v_fmac_f64_e32 v[158:159], s[20:21], v[140:141]
	v_add_f64 v[154:155], v[154:155], v[162:163]
	v_mul_f64 v[162:163], v[134:135], s[36:37]
	v_add_f64 v[158:159], v[158:159], v[166:167]
	v_mul_f64 v[166:167], v[132:133], s[38:39]
	v_add_f64 v[156:157], v[156:157], v[164:165]
	;; [unrolled: 10-line block ×3, first 2 shown]
	v_add_f64 v[168:169], v[168:169], v[176:177]
	v_fma_f64 v[172:173], s[18:19], v[142:143], v[170:171]
	v_fma_f64 v[170:171], v[142:143], s[18:19], -v[170:171]
	v_fma_f64 v[176:177], v[140:141], s[12:13], -v[174:175]
	v_fmac_f64_e32 v[174:175], s[12:13], v[140:141]
	v_mul_f64 v[132:133], v[132:133], s[22:23]
	v_add_f64 v[170:171], v[170:171], v[178:179]
	v_mul_f64 v[178:179], v[134:135], s[8:9]
	v_add_f64 v[174:175], v[174:175], v[184:185]
	v_fma_f64 v[184:185], v[140:141], s[24:25], -v[132:133]
	v_mul_f64 v[134:135], v[134:135], s[22:23]
	v_fmac_f64_e32 v[132:133], s[24:25], v[140:141]
	v_add_f64 v[176:177], v[176:177], v[186:187]
	v_fma_f64 v[186:187], s[24:25], v[142:143], v[134:135]
	v_add_f64 v[104:105], v[132:133], v[104:105]
	v_fma_f64 v[132:133], v[142:143], s[24:25], -v[134:135]
	v_add_f64 v[134:135], v[124:125], v[128:129]
	v_add_f64 v[124:125], v[124:125], -v[128:129]
	v_add_f64 v[106:107], v[132:133], v[106:107]
	v_add_f64 v[132:133], v[126:127], v[130:131]
	v_mul_f64 v[128:129], v[124:125], s[14:15]
	v_add_f64 v[126:127], v[126:127], -v[130:131]
	v_fma_f64 v[130:131], v[132:133], s[20:21], -v[128:129]
	v_add_f64 v[130:131], v[130:131], v[138:139]
	v_mul_f64 v[138:139], v[126:127], s[14:15]
	v_fmac_f64_e32 v[128:129], s[20:21], v[132:133]
	v_fma_f64 v[140:141], s[20:21], v[134:135], v[138:139]
	v_add_f64 v[128:129], v[128:129], v[136:137]
	v_fma_f64 v[136:137], v[134:135], s[20:21], -v[138:139]
	v_mul_f64 v[138:139], v[124:125], s[34:35]
	v_add_f64 v[172:173], v[172:173], v[182:183]
	v_fma_f64 v[182:183], s[12:13], v[142:143], v[178:179]
	v_fma_f64 v[178:179], v[142:143], s[12:13], -v[178:179]
	v_fma_f64 v[142:143], v[132:133], s[24:25], -v[138:139]
	v_fmac_f64_e32 v[138:139], s[24:25], v[132:133]
	v_add_f64 v[136:137], v[136:137], v[144:145]
	v_mul_f64 v[144:145], v[126:127], s[34:35]
	v_add_f64 v[138:139], v[138:139], v[146:147]
	v_mul_f64 v[146:147], v[124:125], s[38:39]
	v_add_f64 v[140:141], v[140:141], v[148:149]
	v_add_f64 v[142:143], v[142:143], v[150:151]
	v_fma_f64 v[148:149], s[24:25], v[134:135], v[144:145]
	v_fma_f64 v[144:145], v[134:135], s[24:25], -v[144:145]
	v_fma_f64 v[150:151], v[132:133], s[18:19], -v[146:147]
	v_fmac_f64_e32 v[146:147], s[18:19], v[132:133]
	v_add_f64 v[144:145], v[144:145], v[154:155]
	v_mul_f64 v[154:155], v[126:127], s[38:39]
	v_add_f64 v[146:147], v[146:147], v[158:159]
	v_mul_f64 v[158:159], v[124:125], s[2:3]
	v_add_f64 v[148:149], v[148:149], v[156:157]
	;; [unrolled: 10-line block ×3, first 2 shown]
	v_add_f64 v[160:161], v[160:161], v[168:169]
	v_fma_f64 v[164:165], s[6:7], v[134:135], v[162:163]
	v_fma_f64 v[162:163], v[134:135], s[6:7], -v[162:163]
	v_fma_f64 v[168:169], v[132:133], s[30:31], -v[166:167]
	v_fmac_f64_e32 v[166:167], s[30:31], v[132:133]
	v_mul_f64 v[124:125], v[124:125], s[40:41]
	v_add_f64 v[162:163], v[162:163], v[170:171]
	v_mul_f64 v[170:171], v[126:127], s[42:43]
	v_add_f64 v[166:167], v[166:167], v[174:175]
	v_fma_f64 v[174:175], v[132:133], s[12:13], -v[124:125]
	v_mul_f64 v[126:127], v[126:127], s[40:41]
	v_fmac_f64_e32 v[124:125], s[12:13], v[132:133]
	v_add_f64 v[164:165], v[164:165], v[172:173]
	v_add_f64 v[168:169], v[168:169], v[176:177]
	v_fma_f64 v[172:173], s[30:31], v[134:135], v[170:171]
	v_fma_f64 v[170:171], v[134:135], s[30:31], -v[170:171]
	v_fma_f64 v[176:177], s[12:13], v[134:135], v[126:127]
	v_add_f64 v[104:105], v[124:125], v[104:105]
	v_fma_f64 v[124:125], v[134:135], s[12:13], -v[126:127]
	v_add_f64 v[134:135], v[116:117], v[120:121]
	v_add_f64 v[116:117], v[116:117], -v[120:121]
	v_add_f64 v[188:189], v[188:189], v[202:203]
	v_add_f64 v[132:133], v[118:119], v[122:123]
	v_mul_f64 v[120:121], v[116:117], s[22:23]
	v_add_f64 v[192:193], v[192:193], v[206:207]
	v_add_f64 v[178:179], v[178:179], v[188:189]
	v_add_f64 v[118:119], v[118:119], -v[122:123]
	v_fma_f64 v[122:123], v[132:133], s[24:25], -v[120:121]
	v_add_f64 v[194:195], v[194:195], v[208:209]
	v_add_f64 v[184:185], v[184:185], v[192:193]
	;; [unrolled: 1-line block ×4, first 2 shown]
	v_mul_f64 v[122:123], v[118:119], s[22:23]
	v_fmac_f64_e32 v[120:121], s[24:25], v[132:133]
	v_add_f64 v[186:187], v[186:187], v[194:195]
	v_add_f64 v[174:175], v[174:175], v[184:185]
	;; [unrolled: 1-line block ×3, first 2 shown]
	v_fma_f64 v[120:121], v[134:135], s[24:25], -v[122:123]
	v_add_f64 v[176:177], v[176:177], v[186:187]
	v_add_f64 v[186:187], v[120:121], v[136:137]
	v_mul_f64 v[120:121], v[116:117], s[26:27]
	v_add_f64 v[106:107], v[124:125], v[106:107]
	v_fma_f64 v[124:125], s[24:25], v[134:135], v[122:123]
	v_fma_f64 v[122:123], v[132:133], s[6:7], -v[120:121]
	v_add_f64 v[188:189], v[122:123], v[142:143]
	v_mul_f64 v[122:123], v[118:119], s[26:27]
	v_fmac_f64_e32 v[120:121], s[6:7], v[132:133]
	v_add_f64 v[190:191], v[190:191], v[204:205]
	v_add_f64 v[192:193], v[120:121], v[138:139]
	v_fma_f64 v[120:121], v[134:135], s[6:7], -v[122:123]
	v_add_f64 v[182:183], v[182:183], v[190:191]
	v_add_f64 v[194:195], v[120:121], v[144:145]
	v_mul_f64 v[120:121], v[116:117], s[8:9]
	v_add_f64 v[172:173], v[172:173], v[182:183]
	v_add_f64 v[182:183], v[124:125], v[140:141]
	v_fma_f64 v[124:125], s[6:7], v[134:135], v[122:123]
	v_fma_f64 v[122:123], v[132:133], s[12:13], -v[120:121]
	v_add_f64 v[202:203], v[122:123], v[150:151]
	v_mul_f64 v[122:123], v[118:119], s[8:9]
	v_fmac_f64_e32 v[120:121], s[12:13], v[132:133]
	v_add_f64 v[204:205], v[120:121], v[146:147]
	v_fma_f64 v[120:121], v[134:135], s[12:13], -v[122:123]
	v_add_f64 v[206:207], v[120:121], v[154:155]
	v_mul_f64 v[120:121], v[116:117], s[42:43]
	v_add_f64 v[190:191], v[124:125], v[148:149]
	v_fma_f64 v[124:125], s[12:13], v[134:135], v[122:123]
	v_fma_f64 v[122:123], v[132:133], s[30:31], -v[120:121]
	v_add_f64 v[150:151], v[122:123], v[160:161]
	v_mul_f64 v[122:123], v[118:119], s[42:43]
	v_fmac_f64_e32 v[120:121], s[30:31], v[132:133]
	v_add_f64 v[146:147], v[120:121], v[158:159]
	v_fma_f64 v[120:121], v[134:135], s[30:31], -v[122:123]
	v_add_f64 v[142:143], v[120:121], v[162:163]
	v_mul_f64 v[120:121], v[116:117], s[38:39]
	v_add_f64 v[156:157], v[124:125], v[156:157]
	v_fma_f64 v[124:125], s[30:31], v[134:135], v[122:123]
	v_fma_f64 v[122:123], v[132:133], s[18:19], -v[120:121]
	v_add_f64 v[138:139], v[122:123], v[168:169]
	v_mul_f64 v[122:123], v[118:119], s[38:39]
	v_fmac_f64_e32 v[120:121], s[18:19], v[132:133]
	v_add_f64 v[130:131], v[120:121], v[166:167]
	v_fma_f64 v[120:121], v[134:135], s[18:19], -v[122:123]
	v_mul_f64 v[116:117], v[116:117], s[14:15]
	v_add_f64 v[140:141], v[110:111], -v[114:115]
	v_add_f64 v[128:129], v[120:121], v[170:171]
	v_fma_f64 v[120:121], v[132:133], s[20:21], -v[116:117]
	v_mul_f64 v[118:119], v[118:119], s[14:15]
	v_fmac_f64_e32 v[116:117], s[20:21], v[132:133]
	v_add_f64 v[132:133], v[108:109], v[112:113]
	v_add_f64 v[144:145], v[108:109], -v[112:113]
	v_mul_f64 v[160:161], v[140:141], s[22:23]
	v_add_f64 v[148:149], v[124:125], v[164:165]
	v_fma_f64 v[124:125], s[18:19], v[134:135], v[122:123]
	v_add_f64 v[126:127], v[120:121], v[174:175]
	v_fma_f64 v[120:121], s[20:21], v[134:135], v[118:119]
	v_add_f64 v[122:123], v[116:117], v[104:105]
	v_fma_f64 v[104:105], v[134:135], s[20:21], -v[118:119]
	v_add_f64 v[134:135], v[110:111], v[114:115]
	v_fma_f64 v[162:163], s[24:25], v[132:133], v[160:161]
	v_mul_f64 v[166:167], v[144:145], s[40:41]
	v_add_f64 v[156:157], v[162:163], v[156:157]
	v_fma_f64 v[162:163], v[134:135], s[12:13], -v[166:167]
	v_add_f64 v[162:163], v[162:163], v[150:151]
	v_mul_f64 v[150:151], v[140:141], s[40:41]
	v_fma_f64 v[164:165], s[12:13], v[132:133], v[150:151]
	v_add_f64 v[164:165], v[164:165], v[148:149]
	v_fma_f64 v[148:149], v[132:133], s[12:13], -v[150:151]
	v_add_f64 v[148:149], v[148:149], v[142:143]
	v_mul_f64 v[142:143], v[144:145], s[14:15]
	v_fmac_f64_e32 v[166:167], s[12:13], v[134:135]
	v_fma_f64 v[150:151], v[134:135], s[20:21], -v[142:143]
	v_add_f64 v[146:147], v[166:167], v[146:147]
	v_add_f64 v[166:167], v[150:151], v[138:139]
	v_mul_f64 v[138:139], v[140:141], s[14:15]
	v_add_f64 v[136:137], v[124:125], v[172:173]
	v_fma_f64 v[150:151], s[20:21], v[132:133], v[138:139]
	v_fmac_f64_e32 v[142:143], s[20:21], v[134:135]
	v_add_f64 v[124:125], v[120:121], v[176:177]
	v_add_f64 v[120:121], v[104:105], v[106:107]
	v_mul_f64 v[104:105], v[144:145], s[28:29]
	v_mul_f64 v[112:113], v[144:145], s[38:39]
	v_add_f64 v[168:169], v[150:151], v[136:137]
	v_add_f64 v[136:137], v[142:143], v[130:131]
	v_fma_f64 v[130:131], v[132:133], s[20:21], -v[138:139]
	v_fma_f64 v[106:107], v[134:135], s[30:31], -v[104:105]
	;; [unrolled: 1-line block ×3, first 2 shown]
	v_add_f64 v[138:139], v[130:131], v[128:129]
	v_mul_f64 v[130:131], v[144:145], s[26:27]
	v_add_f64 v[108:109], v[106:107], v[178:179]
	v_mul_f64 v[106:107], v[140:141], s[28:29]
	;; [unrolled: 2-line block ×3, first 2 shown]
	v_fma_f64 v[128:129], v[134:135], s[6:7], -v[130:131]
	v_mul_f64 v[140:141], v[140:141], s[26:27]
	v_add_f64 v[126:127], v[128:129], v[126:127]
	v_fma_f64 v[128:129], s[6:7], v[132:133], v[140:141]
	v_add_f64 v[128:129], v[128:129], v[124:125]
	v_fma_f64 v[124:125], v[132:133], s[6:7], -v[140:141]
	v_mul_f64 v[158:159], v[144:145], s[22:23]
	v_add_f64 v[124:125], v[124:125], v[120:121]
	v_mul_u32_u24_e32 v120, 0xa9, v152
	v_fma_f64 v[110:111], s[30:31], v[132:133], v[106:107]
	v_fmac_f64_e32 v[104:105], s[30:31], v[134:135]
	v_fma_f64 v[106:107], v[132:133], s[30:31], -v[106:107]
	v_fma_f64 v[118:119], s[18:19], v[132:133], v[114:115]
	v_fmac_f64_e32 v[112:113], s[18:19], v[134:135]
	v_fma_f64 v[114:115], v[132:133], s[18:19], -v[114:115]
	v_fma_f64 v[154:155], v[134:135], s[24:25], -v[158:159]
	v_fmac_f64_e32 v[158:159], s[24:25], v[134:135]
	v_fma_f64 v[160:161], v[132:133], s[24:25], -v[160:161]
	v_fmac_f64_e32 v[130:131], s[6:7], v[134:135]
	v_add_lshl_u32 v232, v120, v153, 4
	v_add_f64 v[110:111], v[110:111], v[182:183]
	v_add_f64 v[104:105], v[104:105], v[184:185]
	;; [unrolled: 1-line block ×10, first 2 shown]
	ds_write_b128 v232, v[100:103]
	ds_write_b128 v232, v[108:111] offset:208
	ds_write_b128 v232, v[116:119] offset:416
	;; [unrolled: 1-line block ×12, first 2 shown]
	v_mov_b64_e32 v[100:101], s[10:11]
	v_mad_u64_u32 v[132:133], s[10:11], v201, s33, v[100:101]
	s_waitcnt lgkmcnt(0)
	s_barrier
	global_load_dwordx4 v[112:115], v[132:133], off offset:2496
	global_load_dwordx4 v[108:111], v[132:133], off offset:2512
	global_load_dwordx4 v[104:107], v[132:133], off offset:2528
	global_load_dwordx4 v[100:103], v[132:133], off offset:2544
	global_load_dwordx4 v[128:131], v[132:133], off offset:2560
	global_load_dwordx4 v[124:127], v[132:133], off offset:2576
	global_load_dwordx4 v[120:123], v[132:133], off offset:2592
	global_load_dwordx4 v[116:119], v[132:133], off offset:2608
	global_load_dwordx4 v[144:147], v[132:133], off offset:2624
	global_load_dwordx4 v[140:143], v[132:133], off offset:2640
	global_load_dwordx4 v[136:139], v[132:133], off offset:2656
	s_nop 0
	global_load_dwordx4 v[132:135], v[132:133], off offset:2672
	ds_read_b128 v[152:155], v196
	ds_read_b128 v[148:151], v196 offset:2704
	ds_read_b128 v[156:159], v196 offset:5408
	;; [unrolled: 1-line block ×12, first 2 shown]
	s_mov_b32 s10, 0x8000
	s_waitcnt vmcnt(11) lgkmcnt(11)
	v_mul_f64 v[172:173], v[150:151], v[114:115]
	v_fma_f64 v[194:195], v[148:149], v[112:113], -v[172:173]
	v_mul_f64 v[222:223], v[148:149], v[114:115]
	s_waitcnt vmcnt(10) lgkmcnt(10)
	v_mul_f64 v[148:149], v[158:159], v[110:111]
	v_fma_f64 v[192:193], v[156:157], v[108:109], -v[148:149]
	s_waitcnt vmcnt(9) lgkmcnt(9)
	v_mul_f64 v[148:149], v[162:163], v[106:107]
	v_fma_f64 v[184:185], v[160:161], v[104:105], -v[148:149]
	;; [unrolled: 3-line block ×3, first 2 shown]
	v_mul_f64 v[172:173], v[164:165], v[102:103]
	s_waitcnt vmcnt(7) lgkmcnt(7)
	v_mul_f64 v[148:149], v[170:171], v[130:131]
	v_mul_f64 v[190:191], v[156:157], v[110:111]
	v_fmac_f64_e32 v[172:173], v[166:167], v[100:101]
	v_fma_f64 v[166:167], v[168:169], v[128:129], -v[148:149]
	s_waitcnt vmcnt(6) lgkmcnt(6)
	v_mul_f64 v[148:149], v[178:179], v[126:127]
	v_fmac_f64_e32 v[190:191], v[158:159], v[108:109]
	v_mul_f64 v[182:183], v[160:161], v[106:107]
	v_fma_f64 v[158:159], v[176:177], v[124:125], -v[148:149]
	s_waitcnt vmcnt(5) lgkmcnt(5)
	v_mul_f64 v[148:149], v[188:189], v[122:123]
	v_fmac_f64_e32 v[182:183], v[162:163], v[104:105]
	v_mul_f64 v[164:165], v[168:169], v[130:131]
	;; [unrolled: 5-line block ×4, first 2 shown]
	v_fma_f64 v[178:179], v[206:207], v[144:145], -v[148:149]
	s_waitcnt vmcnt(2) lgkmcnt(2)
	v_mul_f64 v[148:149], v[212:213], v[142:143]
	v_fmac_f64_e32 v[160:161], v[188:189], v[120:121]
	v_fma_f64 v[188:189], v[210:211], v[140:141], -v[148:149]
	s_waitcnt vmcnt(1) lgkmcnt(1)
	v_mul_f64 v[148:149], v[216:217], v[138:139]
	v_mul_f64 v[168:169], v[202:203], v[118:119]
	v_fma_f64 v[202:203], v[214:215], v[136:137], -v[148:149]
	s_waitcnt vmcnt(0) lgkmcnt(0)
	v_mul_f64 v[148:149], v[220:221], v[134:135]
	v_fmac_f64_e32 v[222:223], v[150:151], v[112:113]
	v_mul_f64 v[176:177], v[206:207], v[146:147]
	v_fma_f64 v[206:207], v[218:219], v[132:133], -v[148:149]
	v_add_f64 v[148:149], v[152:153], v[194:195]
	v_add_f64 v[150:151], v[154:155], v[222:223]
	;; [unrolled: 1-line block ×13, first 2 shown]
	v_fmac_f64_e32 v[168:169], v[204:205], v[116:117]
	v_add_f64 v[150:151], v[150:151], v[160:161]
	v_add_f64 v[148:149], v[148:149], v[170:171]
	v_fmac_f64_e32 v[176:177], v[208:209], v[144:145]
	v_mul_f64 v[186:187], v[210:211], v[142:143]
	v_add_f64 v[150:151], v[150:151], v[168:169]
	v_add_f64 v[148:149], v[148:149], v[178:179]
	v_fmac_f64_e32 v[186:187], v[212:213], v[140:141]
	v_mul_f64 v[204:205], v[214:215], v[138:139]
	v_mul_f64 v[208:209], v[218:219], v[134:135]
	v_add_f64 v[150:151], v[150:151], v[176:177]
	v_add_f64 v[148:149], v[148:149], v[188:189]
	v_fmac_f64_e32 v[204:205], v[216:217], v[136:137]
	v_fmac_f64_e32 v[208:209], v[220:221], v[132:133]
	v_add_f64 v[150:151], v[150:151], v[186:187]
	v_add_f64 v[148:149], v[148:149], v[202:203]
	;; [unrolled: 1-line block ×5, first 2 shown]
	v_add_f64 v[194:195], v[194:195], -v[206:207]
	v_add_f64 v[206:207], v[222:223], -v[208:209]
	v_add_f64 v[150:151], v[150:151], v[208:209]
	v_add_f64 v[212:213], v[222:223], v[208:209]
	v_mul_f64 v[208:209], v[206:207], s[16:17]
	v_mul_f64 v[216:217], v[194:195], s[16:17]
	;; [unrolled: 1-line block ×12, first 2 shown]
	v_fma_f64 v[214:215], v[210:211], s[18:19], -v[208:209]
	v_fma_f64 v[218:219], s[18:19], v[212:213], v[216:217]
	v_fmac_f64_e32 v[208:209], s[18:19], v[210:211]
	v_fma_f64 v[216:217], v[212:213], s[18:19], -v[216:217]
	v_fma_f64 v[222:223], v[210:211], s[12:13], -v[220:221]
	v_fmac_f64_e32 v[220:221], s[12:13], v[210:211]
	v_fma_f64 v[228:229], v[210:211], s[6:7], -v[226:227]
	v_fmac_f64_e32 v[226:227], s[6:7], v[210:211]
	;; [unrolled: 2-line block ×5, first 2 shown]
	v_fma_f64 v[210:211], s[12:13], v[212:213], v[224:225]
	v_fma_f64 v[224:225], v[212:213], s[12:13], -v[224:225]
	v_fma_f64 v[244:245], s[6:7], v[212:213], v[242:243]
	v_fma_f64 v[242:243], v[212:213], s[6:7], -v[242:243]
	v_fma_f64 v[248:249], s[20:21], v[212:213], v[246:247]
	v_fma_f64 v[246:247], v[212:213], s[20:21], -v[246:247]
	v_fma_f64 v[252:253], s[24:25], v[212:213], v[250:251]
	v_fma_f64 v[250:251], v[212:213], s[24:25], -v[250:251]
	v_fma_f64 v[254:255], s[30:31], v[212:213], v[194:195]
	v_fma_f64 v[194:195], v[212:213], s[30:31], -v[194:195]
	v_add_f64 v[212:213], v[152:153], v[214:215]
	v_add_f64 v[214:215], v[154:155], v[218:219]
	;; [unrolled: 1-line block ×16, first 2 shown]
	v_add_f64 v[192:193], v[192:193], -v[202:203]
	v_add_f64 v[202:203], v[190:191], v[204:205]
	v_add_f64 v[190:191], v[190:191], -v[204:205]
	v_mul_f64 v[204:205], v[190:191], s[8:9]
	v_add_f64 v[208:209], v[152:153], v[208:209]
	v_add_f64 v[220:221], v[152:153], v[220:221]
	;; [unrolled: 1-line block ×9, first 2 shown]
	v_fma_f64 v[206:207], v[194:195], s[12:13], -v[204:205]
	v_add_f64 v[206:207], v[206:207], v[212:213]
	v_mul_f64 v[212:213], v[192:193], s[8:9]
	v_fmac_f64_e32 v[204:205], s[12:13], v[194:195]
	v_fma_f64 v[254:255], s[12:13], v[202:203], v[212:213]
	v_add_f64 v[204:205], v[204:205], v[208:209]
	v_fma_f64 v[208:209], v[202:203], s[12:13], -v[212:213]
	v_mul_f64 v[212:213], v[190:191], s[14:15]
	v_add_f64 v[208:209], v[208:209], v[216:217]
	v_fma_f64 v[216:217], v[194:195], s[20:21], -v[212:213]
	v_add_f64 v[216:217], v[216:217], v[218:219]
	v_mul_f64 v[218:219], v[192:193], s[14:15]
	v_fmac_f64_e32 v[212:213], s[20:21], v[194:195]
	v_add_f64 v[214:215], v[254:255], v[214:215]
	v_fma_f64 v[254:255], s[20:21], v[202:203], v[218:219]
	v_add_f64 v[212:213], v[212:213], v[220:221]
	v_fma_f64 v[218:219], v[202:203], s[20:21], -v[218:219]
	v_mul_f64 v[220:221], v[190:191], s[28:29]
	v_add_f64 v[218:219], v[218:219], v[222:223]
	v_fma_f64 v[222:223], v[194:195], s[30:31], -v[220:221]
	v_add_f64 v[222:223], v[222:223], v[224:225]
	v_mul_f64 v[224:225], v[192:193], s[28:29]
	v_fmac_f64_e32 v[220:221], s[30:31], v[194:195]
	v_add_f64 v[210:211], v[254:255], v[210:211]
	;; [unrolled: 10-line block ×3, first 2 shown]
	v_fma_f64 v[254:255], s[24:25], v[202:203], v[242:243]
	v_add_f64 v[226:227], v[226:227], v[230:231]
	v_fma_f64 v[230:231], v[202:203], s[24:25], -v[242:243]
	v_mul_f64 v[242:243], v[190:191], s[26:27]
	v_add_f64 v[230:231], v[230:231], v[246:247]
	v_fma_f64 v[246:247], v[194:195], s[6:7], -v[242:243]
	v_add_f64 v[238:239], v[246:247], v[238:239]
	v_mul_f64 v[246:247], v[192:193], s[26:27]
	v_fmac_f64_e32 v[242:243], s[6:7], v[194:195]
	v_mul_f64 v[190:191], v[190:191], s[38:39]
	v_add_f64 v[244:245], v[254:255], v[244:245]
	v_fma_f64 v[254:255], s[6:7], v[202:203], v[246:247]
	v_add_f64 v[236:237], v[242:243], v[236:237]
	v_fma_f64 v[242:243], v[202:203], s[6:7], -v[246:247]
	v_fma_f64 v[246:247], v[194:195], s[18:19], -v[190:191]
	v_mul_f64 v[192:193], v[192:193], s[38:39]
	v_fmac_f64_e32 v[190:191], s[18:19], v[194:195]
	v_add_f64 v[152:153], v[190:191], v[152:153]
	v_fma_f64 v[190:191], v[202:203], s[18:19], -v[192:193]
	v_add_f64 v[154:155], v[190:191], v[154:155]
	v_add_f64 v[190:191], v[184:185], v[188:189]
	v_add_f64 v[184:185], v[184:185], -v[188:189]
	v_add_f64 v[188:189], v[182:183], v[186:187]
	v_add_f64 v[182:183], v[182:183], -v[186:187]
	v_mul_f64 v[186:187], v[182:183], s[2:3]
	v_add_f64 v[240:241], v[246:247], v[240:241]
	v_fma_f64 v[246:247], s[18:19], v[202:203], v[192:193]
	v_fma_f64 v[192:193], v[190:191], s[6:7], -v[186:187]
	v_mul_f64 v[194:195], v[184:185], s[2:3]
	v_fmac_f64_e32 v[186:187], s[6:7], v[190:191]
	v_fma_f64 v[202:203], s[6:7], v[188:189], v[194:195]
	v_add_f64 v[186:187], v[186:187], v[204:205]
	v_fma_f64 v[194:195], v[188:189], s[6:7], -v[194:195]
	v_mul_f64 v[204:205], v[182:183], s[28:29]
	v_add_f64 v[192:193], v[192:193], v[206:207]
	v_add_f64 v[194:195], v[194:195], v[208:209]
	v_fma_f64 v[206:207], v[190:191], s[30:31], -v[204:205]
	v_mul_f64 v[208:209], v[184:185], s[28:29]
	v_fmac_f64_e32 v[204:205], s[30:31], v[190:191]
	v_add_f64 v[202:203], v[202:203], v[214:215]
	v_fma_f64 v[214:215], s[30:31], v[188:189], v[208:209]
	v_add_f64 v[204:205], v[204:205], v[212:213]
	v_mul_f64 v[212:213], v[182:183], s[36:37]
	v_add_f64 v[206:207], v[206:207], v[216:217]
	v_add_f64 v[210:211], v[214:215], v[210:211]
	v_fma_f64 v[208:209], v[188:189], s[30:31], -v[208:209]
	v_fma_f64 v[214:215], v[190:191], s[20:21], -v[212:213]
	v_mul_f64 v[216:217], v[184:185], s[36:37]
	v_fmac_f64_e32 v[212:213], s[20:21], v[190:191]
	v_add_f64 v[208:209], v[208:209], v[218:219]
	v_fma_f64 v[218:219], s[20:21], v[188:189], v[216:217]
	v_add_f64 v[212:213], v[212:213], v[220:221]
	v_fma_f64 v[216:217], v[188:189], s[20:21], -v[216:217]
	v_mul_f64 v[220:221], v[182:183], s[38:39]
	v_add_f64 v[214:215], v[214:215], v[222:223]
	v_add_f64 v[216:217], v[216:217], v[224:225]
	v_fma_f64 v[222:223], v[190:191], s[18:19], -v[220:221]
	v_mul_f64 v[224:225], v[184:185], s[38:39]
	v_fmac_f64_e32 v[220:221], s[18:19], v[190:191]
	v_add_f64 v[218:219], v[218:219], v[228:229]
	v_fma_f64 v[228:229], s[18:19], v[188:189], v[224:225]
	v_add_f64 v[220:221], v[220:221], v[226:227]
	v_fma_f64 v[224:225], v[188:189], s[18:19], -v[224:225]
	v_mul_f64 v[226:227], v[182:183], s[8:9]
	v_add_f64 v[224:225], v[224:225], v[230:231]
	v_fma_f64 v[230:231], v[190:191], s[12:13], -v[226:227]
	v_fmac_f64_e32 v[226:227], s[12:13], v[190:191]
	v_mul_f64 v[182:183], v[182:183], s[22:23]
	v_add_f64 v[222:223], v[222:223], v[234:235]
	v_mul_f64 v[234:235], v[184:185], s[8:9]
	v_add_f64 v[226:227], v[226:227], v[236:237]
	v_fma_f64 v[236:237], v[190:191], s[24:25], -v[182:183]
	v_mul_f64 v[184:185], v[184:185], s[22:23]
	v_fmac_f64_e32 v[182:183], s[24:25], v[190:191]
	v_add_f64 v[236:237], v[236:237], v[240:241]
	v_fma_f64 v[240:241], s[24:25], v[188:189], v[184:185]
	v_add_f64 v[152:153], v[182:183], v[152:153]
	v_fma_f64 v[182:183], v[188:189], s[24:25], -v[184:185]
	v_add_f64 v[184:185], v[172:173], v[176:177]
	v_add_f64 v[172:173], v[172:173], -v[176:177]
	v_add_f64 v[154:155], v[182:183], v[154:155]
	v_add_f64 v[182:183], v[174:175], v[178:179]
	v_add_f64 v[174:175], v[174:175], -v[178:179]
	v_mul_f64 v[176:177], v[172:173], s[14:15]
	v_add_f64 v[230:231], v[230:231], v[238:239]
	v_fma_f64 v[238:239], s[12:13], v[188:189], v[234:235]
	v_fma_f64 v[234:235], v[188:189], s[12:13], -v[234:235]
	v_fma_f64 v[178:179], v[182:183], s[20:21], -v[176:177]
	v_mul_f64 v[188:189], v[174:175], s[14:15]
	v_fmac_f64_e32 v[176:177], s[20:21], v[182:183]
	v_fma_f64 v[190:191], s[20:21], v[184:185], v[188:189]
	v_add_f64 v[176:177], v[176:177], v[186:187]
	v_fma_f64 v[186:187], v[184:185], s[20:21], -v[188:189]
	v_mul_f64 v[188:189], v[172:173], s[34:35]
	v_add_f64 v[178:179], v[178:179], v[192:193]
	v_fma_f64 v[192:193], v[182:183], s[24:25], -v[188:189]
	v_fmac_f64_e32 v[188:189], s[24:25], v[182:183]
	v_add_f64 v[186:187], v[186:187], v[194:195]
	v_mul_f64 v[194:195], v[174:175], s[34:35]
	v_add_f64 v[188:189], v[188:189], v[204:205]
	v_mul_f64 v[204:205], v[172:173], s[38:39]
	v_add_f64 v[190:191], v[190:191], v[202:203]
	v_add_f64 v[192:193], v[192:193], v[206:207]
	v_fma_f64 v[202:203], s[24:25], v[184:185], v[194:195]
	v_fma_f64 v[194:195], v[184:185], s[24:25], -v[194:195]
	v_fma_f64 v[206:207], v[182:183], s[18:19], -v[204:205]
	v_fmac_f64_e32 v[204:205], s[18:19], v[182:183]
	v_add_f64 v[194:195], v[194:195], v[208:209]
	v_mul_f64 v[208:209], v[174:175], s[38:39]
	v_add_f64 v[204:205], v[204:205], v[212:213]
	v_mul_f64 v[212:213], v[172:173], s[2:3]
	v_add_f64 v[202:203], v[202:203], v[210:211]
	v_add_f64 v[206:207], v[206:207], v[214:215]
	v_fma_f64 v[210:211], s[18:19], v[184:185], v[208:209]
	v_fma_f64 v[208:209], v[184:185], s[18:19], -v[208:209]
	;; [unrolled: 10-line block ×3, first 2 shown]
	v_fma_f64 v[222:223], v[182:183], s[30:31], -v[220:221]
	v_fmac_f64_e32 v[220:221], s[30:31], v[182:183]
	v_mul_f64 v[172:173], v[172:173], s[40:41]
	v_add_f64 v[228:229], v[228:229], v[244:245]
	v_add_f64 v[216:217], v[216:217], v[224:225]
	v_mul_f64 v[224:225], v[174:175], s[42:43]
	v_add_f64 v[220:221], v[220:221], v[226:227]
	v_fma_f64 v[226:227], v[182:183], s[12:13], -v[172:173]
	v_mul_f64 v[174:175], v[174:175], s[40:41]
	v_fmac_f64_e32 v[172:173], s[12:13], v[182:183]
	v_add_f64 v[218:219], v[218:219], v[228:229]
	v_add_f64 v[222:223], v[222:223], v[230:231]
	v_fma_f64 v[228:229], s[30:31], v[184:185], v[224:225]
	v_fma_f64 v[224:225], v[184:185], s[30:31], -v[224:225]
	v_fma_f64 v[230:231], s[12:13], v[184:185], v[174:175]
	v_add_f64 v[152:153], v[172:173], v[152:153]
	v_fma_f64 v[172:173], v[184:185], s[12:13], -v[174:175]
	v_add_f64 v[184:185], v[164:165], v[168:169]
	v_add_f64 v[164:165], v[164:165], -v[168:169]
	v_add_f64 v[242:243], v[242:243], v[250:251]
	v_add_f64 v[182:183], v[166:167], v[170:171]
	v_mul_f64 v[168:169], v[164:165], s[22:23]
	v_add_f64 v[248:249], v[254:255], v[248:249]
	v_add_f64 v[234:235], v[234:235], v[242:243]
	v_add_f64 v[166:167], v[166:167], -v[170:171]
	v_fma_f64 v[170:171], v[182:183], s[24:25], -v[168:169]
	v_add_f64 v[246:247], v[246:247], v[252:253]
	v_add_f64 v[238:239], v[238:239], v[248:249]
	;; [unrolled: 1-line block ×4, first 2 shown]
	v_mul_f64 v[170:171], v[166:167], s[22:23]
	v_fmac_f64_e32 v[168:169], s[24:25], v[182:183]
	v_add_f64 v[240:241], v[240:241], v[246:247]
	v_add_f64 v[228:229], v[228:229], v[238:239]
	;; [unrolled: 1-line block ×3, first 2 shown]
	v_fma_f64 v[168:169], v[184:185], s[24:25], -v[170:171]
	v_add_f64 v[230:231], v[230:231], v[240:241]
	v_add_f64 v[240:241], v[168:169], v[186:187]
	v_mul_f64 v[168:169], v[164:165], s[26:27]
	v_add_f64 v[154:155], v[172:173], v[154:155]
	v_fma_f64 v[172:173], s[24:25], v[184:185], v[170:171]
	v_fma_f64 v[170:171], v[182:183], s[6:7], -v[168:169]
	v_add_f64 v[242:243], v[170:171], v[192:193]
	v_mul_f64 v[170:171], v[166:167], s[26:27]
	v_fmac_f64_e32 v[168:169], s[6:7], v[182:183]
	v_add_f64 v[246:247], v[168:169], v[188:189]
	v_fma_f64 v[168:169], v[184:185], s[6:7], -v[170:171]
	v_add_f64 v[248:249], v[168:169], v[194:195]
	v_mul_f64 v[168:169], v[164:165], s[8:9]
	v_add_f64 v[226:227], v[226:227], v[236:237]
	v_add_f64 v[236:237], v[172:173], v[190:191]
	v_fma_f64 v[172:173], s[6:7], v[184:185], v[170:171]
	v_fma_f64 v[170:171], v[182:183], s[12:13], -v[168:169]
	v_add_f64 v[250:251], v[170:171], v[206:207]
	v_mul_f64 v[170:171], v[166:167], s[8:9]
	v_fmac_f64_e32 v[168:169], s[12:13], v[182:183]
	v_add_f64 v[252:253], v[168:169], v[204:205]
	v_fma_f64 v[168:169], v[184:185], s[12:13], -v[170:171]
	v_add_f64 v[254:255], v[168:169], v[208:209]
	v_mul_f64 v[168:169], v[164:165], s[42:43]
	v_add_f64 v[244:245], v[172:173], v[202:203]
	v_fma_f64 v[172:173], s[12:13], v[184:185], v[170:171]
	v_fma_f64 v[170:171], v[182:183], s[30:31], -v[168:169]
	v_add_f64 v[206:207], v[170:171], v[214:215]
	v_mul_f64 v[170:171], v[166:167], s[42:43]
	v_fmac_f64_e32 v[168:169], s[30:31], v[182:183]
	v_add_f64 v[202:203], v[168:169], v[212:213]
	v_fma_f64 v[168:169], v[184:185], s[30:31], -v[170:171]
	v_add_f64 v[192:193], v[168:169], v[216:217]
	v_mul_f64 v[168:169], v[164:165], s[38:39]
	v_add_f64 v[210:211], v[172:173], v[210:211]
	v_fma_f64 v[172:173], s[30:31], v[184:185], v[170:171]
	v_fma_f64 v[170:171], v[182:183], s[18:19], -v[168:169]
	v_add_f64 v[188:189], v[170:171], v[222:223]
	v_mul_f64 v[170:171], v[166:167], s[38:39]
	v_fmac_f64_e32 v[168:169], s[18:19], v[182:183]
	v_add_f64 v[178:179], v[168:169], v[220:221]
	v_fma_f64 v[168:169], v[184:185], s[18:19], -v[170:171]
	v_mul_f64 v[164:165], v[164:165], s[14:15]
	v_add_f64 v[190:191], v[158:159], -v[162:163]
	v_add_f64 v[176:177], v[168:169], v[224:225]
	v_fma_f64 v[168:169], v[182:183], s[20:21], -v[164:165]
	v_mul_f64 v[166:167], v[166:167], s[14:15]
	v_fmac_f64_e32 v[164:165], s[20:21], v[182:183]
	v_add_f64 v[182:183], v[156:157], v[160:161]
	v_add_f64 v[194:195], v[156:157], -v[160:161]
	v_mul_f64 v[214:215], v[190:191], s[22:23]
	v_add_f64 v[204:205], v[172:173], v[218:219]
	v_fma_f64 v[172:173], s[18:19], v[184:185], v[170:171]
	v_add_f64 v[174:175], v[168:169], v[226:227]
	v_fma_f64 v[168:169], s[20:21], v[184:185], v[166:167]
	v_add_f64 v[170:171], v[164:165], v[152:153]
	v_fma_f64 v[152:153], v[184:185], s[20:21], -v[166:167]
	v_add_f64 v[184:185], v[158:159], v[162:163]
	v_fma_f64 v[216:217], s[24:25], v[182:183], v[214:215]
	v_mul_f64 v[220:221], v[194:195], s[40:41]
	v_add_f64 v[210:211], v[216:217], v[210:211]
	v_fma_f64 v[216:217], v[184:185], s[12:13], -v[220:221]
	v_add_f64 v[216:217], v[216:217], v[206:207]
	v_mul_f64 v[206:207], v[190:191], s[40:41]
	v_fma_f64 v[218:219], s[12:13], v[182:183], v[206:207]
	v_add_f64 v[218:219], v[218:219], v[204:205]
	v_fma_f64 v[204:205], v[182:183], s[12:13], -v[206:207]
	v_add_f64 v[204:205], v[204:205], v[192:193]
	v_mul_f64 v[192:193], v[194:195], s[14:15]
	v_fmac_f64_e32 v[220:221], s[12:13], v[184:185]
	v_fma_f64 v[206:207], v[184:185], s[20:21], -v[192:193]
	v_add_f64 v[202:203], v[220:221], v[202:203]
	v_add_f64 v[220:221], v[206:207], v[188:189]
	v_mul_f64 v[188:189], v[190:191], s[14:15]
	v_add_f64 v[186:187], v[172:173], v[228:229]
	v_fma_f64 v[206:207], s[20:21], v[182:183], v[188:189]
	v_fmac_f64_e32 v[192:193], s[20:21], v[184:185]
	v_add_f64 v[172:173], v[168:169], v[230:231]
	v_add_f64 v[168:169], v[152:153], v[154:155]
	v_mul_f64 v[152:153], v[194:195], s[28:29]
	v_mul_f64 v[160:161], v[194:195], s[38:39]
	v_add_f64 v[222:223], v[206:207], v[186:187]
	v_add_f64 v[186:187], v[192:193], v[178:179]
	v_fma_f64 v[178:179], v[182:183], s[20:21], -v[188:189]
	v_fma_f64 v[154:155], v[184:185], s[30:31], -v[152:153]
	;; [unrolled: 1-line block ×3, first 2 shown]
	v_add_f64 v[188:189], v[178:179], v[176:177]
	v_mul_f64 v[178:179], v[194:195], s[26:27]
	v_add_f64 v[156:157], v[154:155], v[234:235]
	v_mul_f64 v[154:155], v[190:191], s[28:29]
	;; [unrolled: 2-line block ×3, first 2 shown]
	v_fma_f64 v[176:177], v[184:185], s[6:7], -v[178:179]
	v_mul_f64 v[190:191], v[190:191], s[26:27]
	v_mul_f64 v[212:213], v[194:195], s[22:23]
	v_add_f64 v[174:175], v[176:177], v[174:175]
	v_fma_f64 v[176:177], s[6:7], v[182:183], v[190:191]
	v_fma_f64 v[158:159], s[30:31], v[182:183], v[154:155]
	v_fmac_f64_e32 v[152:153], s[30:31], v[184:185]
	v_fma_f64 v[154:155], v[182:183], s[30:31], -v[154:155]
	v_fma_f64 v[166:167], s[18:19], v[182:183], v[162:163]
	v_fmac_f64_e32 v[160:161], s[18:19], v[184:185]
	v_fma_f64 v[162:163], v[182:183], s[18:19], -v[162:163]
	v_fma_f64 v[208:209], v[184:185], s[24:25], -v[212:213]
	v_fmac_f64_e32 v[212:213], s[24:25], v[184:185]
	v_fma_f64 v[214:215], v[182:183], s[24:25], -v[214:215]
	v_add_f64 v[176:177], v[176:177], v[172:173]
	v_fmac_f64_e32 v[178:179], s[6:7], v[184:185]
	v_fma_f64 v[172:173], v[182:183], s[6:7], -v[190:191]
	v_add_f64 v[158:159], v[158:159], v[236:237]
	v_add_f64 v[152:153], v[152:153], v[238:239]
	;; [unrolled: 1-line block ×11, first 2 shown]
	ds_write_b128 v196, v[148:151]
	ds_write_b128 v196, v[156:159] offset:2704
	ds_write_b128 v196, v[164:167] offset:5408
	;; [unrolled: 1-line block ×12, first 2 shown]
	v_add_co_u32_e32 v148, vcc, s10, v180
	s_waitcnt lgkmcnt(0)
	s_nop 0
	v_addc_co_u32_e32 v149, vcc, 0, v181, vcc
	s_barrier
	global_load_dwordx4 v[148:151], v[148:149], off offset:2384
	s_mov_b64 s[10:11], 0x8950
	v_lshl_add_u64 v[152:153], v[180:181], 0, s[10:11]
	global_load_dwordx4 v[152:155], v[152:153], off offset:2704
	s_mov_b32 s10, 0x9000
	v_add_co_u32_e32 v156, vcc, s10, v180
	s_mov_b32 s10, 0xa000
	s_nop 0
	v_addc_co_u32_e32 v157, vcc, 0, v181, vcc
	global_load_dwordx4 v[156:159], v[156:157], off offset:3696
	v_add_co_u32_e32 v160, vcc, s10, v180
	s_mov_b32 s10, 0xb000
	s_nop 0
	v_addc_co_u32_e32 v161, vcc, 0, v181, vcc
	global_load_dwordx4 v[160:163], v[160:161], off offset:2304
	;; [unrolled: 5-line block ×3, first 2 shown]
	s_nop 0
	global_load_dwordx4 v[168:171], v[168:169], off offset:3616
	v_add_co_u32_e32 v172, vcc, s10, v180
	s_mov_b32 s10, 0xd000
	s_nop 0
	v_addc_co_u32_e32 v173, vcc, 0, v181, vcc
	global_load_dwordx4 v[172:175], v[172:173], off offset:2224
	v_add_co_u32_e32 v182, vcc, s10, v180
	s_mov_b32 s10, 0xe000
	s_nop 0
	v_addc_co_u32_e32 v183, vcc, 0, v181, vcc
	global_load_dwordx4 v[176:179], v[182:183], off offset:832
	s_nop 0
	global_load_dwordx4 v[182:185], v[182:183], off offset:3536
	v_add_co_u32_e32 v186, vcc, s10, v180
	s_mov_b32 s10, 0xf000
	s_nop 0
	v_addc_co_u32_e32 v187, vcc, 0, v181, vcc
	global_load_dwordx4 v[186:189], v[186:187], off offset:2144
	v_add_co_u32_e32 v194, vcc, s10, v180
	s_mov_b32 s10, 0x10000
	s_nop 0
	v_addc_co_u32_e32 v195, vcc, 0, v181, vcc
	global_load_dwordx4 v[190:193], v[194:195], off offset:752
	global_load_dwordx4 v[202:205], v[194:195], off offset:3456
	v_add_co_u32_e32 v180, vcc, s10, v180
	s_nop 1
	v_addc_co_u32_e32 v181, vcc, 0, v181, vcc
	global_load_dwordx4 v[206:209], v[180:181], off offset:2064
	ds_read_b128 v[210:213], v196
	ds_read_b128 v[214:217], v196 offset:2704
	s_waitcnt vmcnt(12) lgkmcnt(1)
	v_mul_f64 v[180:181], v[212:213], v[150:151]
	v_mul_f64 v[220:221], v[210:211], v[150:151]
	v_fma_f64 v[218:219], v[210:211], v[148:149], -v[180:181]
	v_fmac_f64_e32 v[220:221], v[212:213], v[148:149]
	ds_read_b128 v[210:213], v196 offset:5408
	s_waitcnt vmcnt(11) lgkmcnt(1)
	v_mul_f64 v[148:149], v[216:217], v[154:155]
	v_mul_f64 v[150:151], v[214:215], v[154:155]
	v_fma_f64 v[148:149], v[214:215], v[152:153], -v[148:149]
	v_fmac_f64_e32 v[150:151], v[216:217], v[152:153]
	ds_write_b128 v196, v[148:151] offset:2704
	ds_read_b128 v[148:151], v196 offset:8112
	s_waitcnt vmcnt(10) lgkmcnt(2)
	v_mul_f64 v[152:153], v[212:213], v[158:159]
	v_mul_f64 v[154:155], v[210:211], v[158:159]
	v_fma_f64 v[152:153], v[210:211], v[156:157], -v[152:153]
	v_fmac_f64_e32 v[154:155], v[212:213], v[156:157]
	ds_read_b128 v[156:159], v196 offset:10816
	ds_write_b128 v196, v[152:155] offset:5408
	s_waitcnt vmcnt(9) lgkmcnt(2)
	v_mul_f64 v[152:153], v[150:151], v[162:163]
	v_mul_f64 v[154:155], v[148:149], v[162:163]
	v_fma_f64 v[152:153], v[148:149], v[160:161], -v[152:153]
	v_fmac_f64_e32 v[154:155], v[150:151], v[160:161]
	ds_read_b128 v[148:151], v196 offset:13520
	ds_write_b128 v196, v[152:155] offset:8112
	;; [unrolled: 7-line block ×8, first 2 shown]
	s_waitcnt vmcnt(2) lgkmcnt(3)
	v_mul_f64 v[152:153], v[158:159], v[192:193]
	v_mul_f64 v[154:155], v[156:157], v[192:193]
	v_fma_f64 v[152:153], v[156:157], v[190:191], -v[152:153]
	v_fmac_f64_e32 v[154:155], v[158:159], v[190:191]
	ds_write_b128 v196, v[152:155] offset:27040
	ds_read_b128 v[152:155], v196 offset:32448
	s_waitcnt vmcnt(1) lgkmcnt(3)
	v_mul_f64 v[156:157], v[150:151], v[204:205]
	v_mul_f64 v[158:159], v[148:149], v[204:205]
	v_fma_f64 v[156:157], v[148:149], v[202:203], -v[156:157]
	v_fmac_f64_e32 v[158:159], v[150:151], v[202:203]
	s_waitcnt vmcnt(0) lgkmcnt(0)
	v_mul_f64 v[148:149], v[154:155], v[208:209]
	v_mul_f64 v[150:151], v[152:153], v[208:209]
	v_fma_f64 v[148:149], v[152:153], v[206:207], -v[148:149]
	v_fmac_f64_e32 v[150:151], v[154:155], v[206:207]
	ds_write_b128 v196, v[218:221]
	ds_write_b128 v196, v[156:159] offset:29744
	ds_write_b128 v196, v[148:151] offset:32448
	s_waitcnt lgkmcnt(0)
	s_barrier
	ds_read_b128 v[176:179], v196
	ds_read_b128 v[206:209], v196 offset:2704
	ds_read_b128 v[188:191], v196 offset:5408
	;; [unrolled: 1-line block ×12, first 2 shown]
	s_waitcnt lgkmcnt(11)
	v_add_f64 v[150:151], v[178:179], v[208:209]
	v_add_f64 v[148:149], v[176:177], v[206:207]
	s_waitcnt lgkmcnt(10)
	v_add_f64 v[150:151], v[150:151], v[190:191]
	v_add_f64 v[148:149], v[148:149], v[188:189]
	;; [unrolled: 3-line block ×10, first 2 shown]
	s_waitcnt lgkmcnt(1)
	v_add_f64 v[150:151], v[150:151], v[194:195]
	s_waitcnt lgkmcnt(0)
	v_add_f64 v[226:227], v[208:209], -v[212:213]
	v_add_f64 v[148:149], v[148:149], v[192:193]
	v_add_f64 v[150:151], v[150:151], v[212:213]
	;; [unrolled: 1-line block ×4, first 2 shown]
	v_mul_f64 v[212:213], v[226:227], s[16:17]
	v_mul_f64 v[222:223], v[226:227], s[8:9]
	;; [unrolled: 1-line block ×4, first 2 shown]
	v_add_f64 v[236:237], v[188:189], v[192:193]
	v_add_f64 v[188:189], v[188:189], -v[192:193]
	v_add_f64 v[192:193], v[180:181], v[184:185]
	v_add_f64 v[180:181], v[180:181], -v[184:185]
	v_mul_f64 v[184:185], v[226:227], s[22:23]
	v_mul_f64 v[226:227], v[226:227], s[28:29]
	v_add_f64 v[202:203], v[206:207], -v[210:211]
	v_fma_f64 v[208:209], s[18:19], v[218:219], v[212:213]
	v_mul_f64 v[206:207], v[204:205], s[18:19]
	v_fma_f64 v[212:213], v[218:219], s[18:19], -v[212:213]
	v_fma_f64 v[216:217], s[12:13], v[218:219], v[222:223]
	v_mul_f64 v[214:215], v[204:205], s[12:13]
	v_fma_f64 v[222:223], v[218:219], s[12:13], -v[222:223]
	v_fma_f64 v[224:225], s[6:7], v[218:219], v[228:229]
	v_fma_f64 v[228:229], v[218:219], s[6:7], -v[228:229]
	v_fma_f64 v[230:231], s[20:21], v[218:219], v[234:235]
	v_fma_f64 v[234:235], v[218:219], s[20:21], -v[234:235]
	v_add_f64 v[238:239], v[190:191], v[194:195]
	v_add_f64 v[190:191], v[190:191], -v[194:195]
	v_add_f64 v[194:195], v[182:183], v[186:187]
	v_add_f64 v[182:183], v[182:183], -v[186:187]
	v_fma_f64 v[186:187], s[24:25], v[218:219], v[184:185]
	v_fma_f64 v[184:185], v[218:219], s[24:25], -v[184:185]
	v_fma_f64 v[240:241], s[30:31], v[218:219], v[226:227]
	v_fma_f64 v[218:219], v[218:219], s[30:31], -v[226:227]
	v_mul_f64 v[226:227], v[204:205], s[6:7]
	v_mul_f64 v[244:245], v[204:205], s[20:21]
	;; [unrolled: 1-line block ×4, first 2 shown]
	v_add_f64 v[148:149], v[148:149], v[210:211]
	v_fma_f64 v[210:211], s[38:39], v[202:203], v[206:207]
	v_fmac_f64_e32 v[206:207], s[16:17], v[202:203]
	v_fma_f64 v[220:221], s[40:41], v[202:203], v[214:215]
	v_fmac_f64_e32 v[214:215], s[8:9], v[202:203]
	v_fma_f64 v[242:243], s[26:27], v[202:203], v[226:227]
	v_fmac_f64_e32 v[226:227], s[2:3], v[202:203]
	v_fma_f64 v[246:247], s[36:37], v[202:203], v[244:245]
	v_fmac_f64_e32 v[244:245], s[14:15], v[202:203]
	v_fma_f64 v[250:251], s[34:35], v[202:203], v[248:249]
	v_fmac_f64_e32 v[248:249], s[22:23], v[202:203]
	v_fma_f64 v[252:253], s[42:43], v[202:203], v[204:205]
	v_fmac_f64_e32 v[204:205], s[28:29], v[202:203]
	v_add_f64 v[202:203], v[176:177], v[208:209]
	v_add_f64 v[208:209], v[178:179], v[210:211]
	;; [unrolled: 1-line block ×17, first 2 shown]
	v_mul_f64 v[204:205], v[190:191], s[8:9]
	v_add_f64 v[228:229], v[176:177], v[228:229]
	v_add_f64 v[230:231], v[176:177], v[230:231]
	;; [unrolled: 1-line block ×7, first 2 shown]
	v_fma_f64 v[218:219], s[12:13], v[236:237], v[204:205]
	v_add_f64 v[202:203], v[218:219], v[202:203]
	v_mul_f64 v[218:219], v[238:239], s[12:13]
	v_fma_f64 v[204:205], v[236:237], s[12:13], -v[204:205]
	v_fma_f64 v[252:253], s[40:41], v[188:189], v[218:219]
	v_add_f64 v[204:205], v[204:205], v[210:211]
	v_fmac_f64_e32 v[218:219], s[8:9], v[188:189]
	v_mul_f64 v[210:211], v[190:191], s[14:15]
	v_add_f64 v[206:207], v[218:219], v[206:207]
	v_fma_f64 v[218:219], s[20:21], v[236:237], v[210:211]
	v_add_f64 v[212:213], v[218:219], v[212:213]
	v_mul_f64 v[218:219], v[238:239], s[20:21]
	v_add_f64 v[208:209], v[252:253], v[208:209]
	v_fma_f64 v[252:253], s[36:37], v[188:189], v[218:219]
	v_fmac_f64_e32 v[218:219], s[14:15], v[188:189]
	v_fma_f64 v[210:211], v[236:237], s[20:21], -v[210:211]
	v_add_f64 v[214:215], v[218:219], v[214:215]
	v_mul_f64 v[218:219], v[190:191], s[28:29]
	v_add_f64 v[210:211], v[210:211], v[220:221]
	v_fma_f64 v[220:221], s[30:31], v[236:237], v[218:219]
	v_add_f64 v[220:221], v[220:221], v[222:223]
	v_mul_f64 v[222:223], v[238:239], s[30:31]
	v_add_f64 v[216:217], v[252:253], v[216:217]
	v_fma_f64 v[252:253], s[42:43], v[188:189], v[222:223]
	v_fmac_f64_e32 v[222:223], s[28:29], v[188:189]
	v_fma_f64 v[218:219], v[236:237], s[30:31], -v[218:219]
	v_add_f64 v[222:223], v[222:223], v[226:227]
	v_mul_f64 v[226:227], v[190:191], s[34:35]
	v_add_f64 v[218:219], v[218:219], v[228:229]
	v_fma_f64 v[228:229], s[24:25], v[236:237], v[226:227]
	v_add_f64 v[228:229], v[228:229], v[230:231]
	v_mul_f64 v[230:231], v[238:239], s[24:25]
	v_fma_f64 v[226:227], v[236:237], s[24:25], -v[226:227]
	v_add_f64 v[224:225], v[252:253], v[224:225]
	v_fma_f64 v[252:253], s[22:23], v[188:189], v[230:231]
	v_add_f64 v[226:227], v[226:227], v[234:235]
	v_fmac_f64_e32 v[230:231], s[34:35], v[188:189]
	v_mul_f64 v[234:235], v[190:191], s[26:27]
	v_add_f64 v[230:231], v[230:231], v[244:245]
	v_fma_f64 v[244:245], s[6:7], v[236:237], v[234:235]
	v_add_f64 v[186:187], v[244:245], v[186:187]
	v_mul_f64 v[244:245], v[238:239], s[6:7]
	v_add_f64 v[242:243], v[252:253], v[242:243]
	v_fma_f64 v[252:253], s[2:3], v[188:189], v[244:245]
	v_fma_f64 v[234:235], v[236:237], s[6:7], -v[234:235]
	v_fmac_f64_e32 v[244:245], s[26:27], v[188:189]
	v_mul_f64 v[190:191], v[190:191], s[38:39]
	v_add_f64 v[184:185], v[234:235], v[184:185]
	v_add_f64 v[234:235], v[244:245], v[248:249]
	v_fma_f64 v[244:245], s[18:19], v[236:237], v[190:191]
	v_mul_f64 v[238:239], v[238:239], s[18:19]
	v_add_f64 v[240:241], v[244:245], v[240:241]
	v_fma_f64 v[244:245], s[16:17], v[188:189], v[238:239]
	v_fma_f64 v[190:191], v[236:237], s[18:19], -v[190:191]
	v_fmac_f64_e32 v[238:239], s[38:39], v[188:189]
	v_mul_f64 v[188:189], v[182:183], s[2:3]
	v_add_f64 v[176:177], v[190:191], v[176:177]
	v_fma_f64 v[190:191], s[6:7], v[192:193], v[188:189]
	v_add_f64 v[190:191], v[190:191], v[202:203]
	v_mul_f64 v[202:203], v[194:195], s[6:7]
	v_fma_f64 v[188:189], v[192:193], s[6:7], -v[188:189]
	v_fma_f64 v[236:237], s[26:27], v[180:181], v[202:203]
	v_add_f64 v[188:189], v[188:189], v[204:205]
	v_fmac_f64_e32 v[202:203], s[2:3], v[180:181]
	v_mul_f64 v[204:205], v[182:183], s[28:29]
	v_add_f64 v[202:203], v[202:203], v[206:207]
	v_fma_f64 v[206:207], s[30:31], v[192:193], v[204:205]
	v_add_f64 v[206:207], v[206:207], v[212:213]
	v_mul_f64 v[212:213], v[194:195], s[30:31]
	v_add_f64 v[208:209], v[236:237], v[208:209]
	v_fma_f64 v[236:237], s[42:43], v[180:181], v[212:213]
	v_fma_f64 v[204:205], v[192:193], s[30:31], -v[204:205]
	v_fmac_f64_e32 v[212:213], s[28:29], v[180:181]
	v_add_f64 v[204:205], v[204:205], v[210:211]
	v_add_f64 v[210:211], v[212:213], v[214:215]
	v_mul_f64 v[212:213], v[182:183], s[36:37]
	v_fma_f64 v[214:215], s[20:21], v[192:193], v[212:213]
	v_add_f64 v[214:215], v[214:215], v[220:221]
	v_mul_f64 v[220:221], v[194:195], s[20:21]
	v_add_f64 v[216:217], v[236:237], v[216:217]
	v_fma_f64 v[236:237], s[14:15], v[180:181], v[220:221]
	v_fma_f64 v[212:213], v[192:193], s[20:21], -v[212:213]
	v_fmac_f64_e32 v[220:221], s[36:37], v[180:181]
	v_add_f64 v[212:213], v[212:213], v[218:219]
	v_add_f64 v[218:219], v[220:221], v[222:223]
	v_mul_f64 v[220:221], v[182:183], s[38:39]
	;; [unrolled: 10-line block ×3, first 2 shown]
	v_fma_f64 v[230:231], s[12:13], v[192:193], v[228:229]
	v_add_f64 v[186:187], v[230:231], v[186:187]
	v_mul_f64 v[230:231], v[194:195], s[12:13]
	v_add_f64 v[178:179], v[238:239], v[178:179]
	v_fma_f64 v[238:239], s[40:41], v[180:181], v[230:231]
	v_fma_f64 v[228:229], v[192:193], s[12:13], -v[228:229]
	v_fmac_f64_e32 v[230:231], s[8:9], v[180:181]
	v_mul_f64 v[182:183], v[182:183], s[22:23]
	v_add_f64 v[184:185], v[228:229], v[184:185]
	v_add_f64 v[228:229], v[230:231], v[234:235]
	v_fma_f64 v[230:231], s[24:25], v[192:193], v[182:183]
	v_fma_f64 v[182:183], v[192:193], s[24:25], -v[182:183]
	v_mul_f64 v[194:195], v[194:195], s[24:25]
	v_add_f64 v[176:177], v[182:183], v[176:177]
	v_add_f64 v[182:183], v[170:171], v[174:175]
	v_add_f64 v[170:171], v[170:171], -v[174:175]
	v_fma_f64 v[234:235], s[34:35], v[180:181], v[194:195]
	v_fmac_f64_e32 v[194:195], s[22:23], v[180:181]
	v_add_f64 v[180:181], v[168:169], v[172:173]
	v_add_f64 v[168:169], v[168:169], -v[172:173]
	v_mul_f64 v[172:173], v[170:171], s[14:15]
	v_fma_f64 v[174:175], s[20:21], v[180:181], v[172:173]
	v_add_f64 v[174:175], v[174:175], v[190:191]
	v_mul_f64 v[190:191], v[182:183], s[20:21]
	v_fma_f64 v[192:193], s[36:37], v[168:169], v[190:191]
	v_fma_f64 v[172:173], v[180:181], s[20:21], -v[172:173]
	v_fmac_f64_e32 v[190:191], s[14:15], v[168:169]
	v_add_f64 v[172:173], v[172:173], v[188:189]
	v_add_f64 v[188:189], v[190:191], v[202:203]
	v_mul_f64 v[190:191], v[170:171], s[34:35]
	v_add_f64 v[178:179], v[194:195], v[178:179]
	v_fma_f64 v[194:195], s[24:25], v[180:181], v[190:191]
	v_mul_f64 v[202:203], v[182:183], s[24:25]
	v_fma_f64 v[190:191], v[180:181], s[24:25], -v[190:191]
	v_add_f64 v[194:195], v[194:195], v[206:207]
	v_fma_f64 v[206:207], s[22:23], v[168:169], v[202:203]
	v_add_f64 v[190:191], v[190:191], v[204:205]
	v_fmac_f64_e32 v[202:203], s[34:35], v[168:169]
	v_mul_f64 v[204:205], v[170:171], s[38:39]
	v_add_f64 v[192:193], v[192:193], v[208:209]
	v_add_f64 v[202:203], v[202:203], v[210:211]
	v_fma_f64 v[208:209], s[18:19], v[180:181], v[204:205]
	v_mul_f64 v[210:211], v[182:183], s[18:19]
	v_add_f64 v[208:209], v[208:209], v[214:215]
	v_fma_f64 v[214:215], s[16:17], v[168:169], v[210:211]
	v_fmac_f64_e32 v[210:211], s[38:39], v[168:169]
	v_add_f64 v[206:207], v[206:207], v[216:217]
	v_fma_f64 v[204:205], v[180:181], s[18:19], -v[204:205]
	v_add_f64 v[216:217], v[210:211], v[218:219]
	v_mul_f64 v[210:211], v[170:171], s[2:3]
	v_add_f64 v[204:205], v[204:205], v[212:213]
	v_fma_f64 v[212:213], s[6:7], v[180:181], v[210:211]
	v_add_f64 v[218:219], v[212:213], v[222:223]
	v_mul_f64 v[212:213], v[182:183], s[6:7]
	v_fma_f64 v[210:211], v[180:181], s[6:7], -v[210:211]
	v_fma_f64 v[222:223], s[26:27], v[168:169], v[212:213]
	v_add_f64 v[220:221], v[210:211], v[220:221]
	v_fmac_f64_e32 v[212:213], s[2:3], v[168:169]
	v_mul_f64 v[210:211], v[170:171], s[42:43]
	v_add_f64 v[214:215], v[214:215], v[224:225]
	v_add_f64 v[224:225], v[212:213], v[226:227]
	v_fma_f64 v[212:213], s[30:31], v[180:181], v[210:211]
	v_add_f64 v[246:247], v[252:253], v[246:247]
	v_add_f64 v[236:237], v[236:237], v[242:243]
	;; [unrolled: 1-line block ×3, first 2 shown]
	v_mul_f64 v[212:213], v[182:183], s[30:31]
	v_fma_f64 v[210:211], v[180:181], s[30:31], -v[210:211]
	v_mul_f64 v[170:171], v[170:171], s[40:41]
	v_add_f64 v[242:243], v[162:163], -v[166:167]
	v_add_f64 v[238:239], v[238:239], v[246:247]
	v_add_f64 v[230:231], v[230:231], v[240:241]
	;; [unrolled: 1-line block ×3, first 2 shown]
	v_fma_f64 v[226:227], s[28:29], v[168:169], v[212:213]
	v_add_f64 v[236:237], v[210:211], v[184:185]
	v_fma_f64 v[184:185], s[12:13], v[180:181], v[170:171]
	v_fma_f64 v[170:171], v[180:181], s[12:13], -v[170:171]
	v_add_f64 v[180:181], v[160:161], v[164:165]
	v_add_f64 v[240:241], v[160:161], -v[164:165]
	v_mul_f64 v[160:161], v[242:243], s[22:23]
	v_add_f64 v[244:245], v[244:245], v[250:251]
	v_add_f64 v[226:227], v[226:227], v[238:239]
	v_add_f64 v[238:239], v[162:163], v[166:167]
	v_fma_f64 v[162:163], s[24:25], v[180:181], v[160:161]
	v_add_f64 v[234:235], v[234:235], v[244:245]
	v_add_f64 v[244:245], v[162:163], v[174:175]
	v_mul_f64 v[162:163], v[238:239], s[24:25]
	v_fma_f64 v[160:161], v[180:181], s[24:25], -v[160:161]
	v_fma_f64 v[164:165], s[34:35], v[240:241], v[162:163]
	v_add_f64 v[248:249], v[160:161], v[172:173]
	v_fmac_f64_e32 v[162:163], s[22:23], v[240:241]
	v_mul_f64 v[160:161], v[242:243], s[26:27]
	v_mul_f64 v[172:173], v[242:243], s[8:9]
	v_fmac_f64_e32 v[212:213], s[42:43], v[168:169]
	v_add_f64 v[250:251], v[162:163], v[188:189]
	v_fma_f64 v[162:163], s[6:7], v[180:181], v[160:161]
	v_fma_f64 v[174:175], s[12:13], v[180:181], v[172:173]
	v_add_f64 v[228:229], v[212:213], v[228:229]
	v_add_f64 v[246:247], v[164:165], v[192:193]
	;; [unrolled: 1-line block ×3, first 2 shown]
	v_mul_f64 v[162:163], v[238:239], s[6:7]
	v_add_f64 v[212:213], v[174:175], v[208:209]
	v_mul_f64 v[174:175], v[238:239], s[12:13]
	v_fma_f64 v[172:173], v[180:181], s[12:13], -v[172:173]
	v_add_f64 v[170:171], v[170:171], v[176:177]
	v_fma_f64 v[166:167], s[2:3], v[240:241], v[162:163]
	v_fma_f64 v[176:177], s[40:41], v[240:241], v[174:175]
	v_add_f64 v[208:209], v[172:173], v[204:205]
	v_fmac_f64_e32 v[174:175], s[8:9], v[240:241]
	v_mul_f64 v[172:173], v[242:243], s[42:43]
	v_add_f64 v[166:167], v[166:167], v[206:207]
	v_add_f64 v[206:207], v[174:175], v[216:217]
	v_fma_f64 v[174:175], s[30:31], v[180:181], v[172:173]
	v_add_f64 v[204:205], v[174:175], v[218:219]
	v_mul_f64 v[174:175], v[238:239], s[30:31]
	v_fma_f64 v[172:173], v[180:181], s[30:31], -v[172:173]
	v_mul_f64 v[182:183], v[182:183], s[12:13]
	v_fma_f64 v[160:161], v[180:181], s[6:7], -v[160:161]
	v_add_f64 v[210:211], v[176:177], v[214:215]
	v_fma_f64 v[176:177], s[28:29], v[240:241], v[174:175]
	v_add_f64 v[192:193], v[172:173], v[220:221]
	v_fmac_f64_e32 v[174:175], s[42:43], v[240:241]
	v_mul_f64 v[172:173], v[242:243], s[38:39]
	v_add_f64 v[230:231], v[184:185], v[230:231]
	v_fma_f64 v[184:185], s[8:9], v[168:169], v[182:183]
	v_add_f64 v[160:161], v[160:161], v[190:191]
	v_add_f64 v[190:191], v[174:175], v[224:225]
	v_fma_f64 v[174:175], s[18:19], v[180:181], v[172:173]
	v_add_f64 v[234:235], v[184:185], v[234:235]
	v_fmac_f64_e32 v[182:183], s[40:41], v[168:169]
	v_fmac_f64_e32 v[162:163], s[26:27], v[240:241]
	v_add_f64 v[184:185], v[174:175], v[186:187]
	v_mul_f64 v[174:175], v[238:239], s[18:19]
	v_fma_f64 v[172:173], v[180:181], s[18:19], -v[172:173]
	v_mul_f64 v[186:187], v[242:243], s[14:15]
	v_add_f64 v[168:169], v[182:183], v[178:179]
	v_add_f64 v[162:163], v[162:163], v[202:203]
	;; [unrolled: 1-line block ×3, first 2 shown]
	v_fma_f64 v[176:177], s[16:17], v[240:241], v[174:175]
	v_add_f64 v[178:179], v[172:173], v[236:237]
	v_fmac_f64_e32 v[174:175], s[38:39], v[240:241]
	v_fma_f64 v[172:173], s[20:21], v[180:181], v[186:187]
	v_mul_f64 v[188:189], v[238:239], s[20:21]
	v_add_f64 v[194:195], v[154:155], -v[158:159]
	v_add_f64 v[182:183], v[176:177], v[226:227]
	v_add_f64 v[176:177], v[174:175], v[228:229]
	;; [unrolled: 1-line block ×3, first 2 shown]
	v_fma_f64 v[172:173], s[36:37], v[240:241], v[188:189]
	v_fma_f64 v[180:181], v[180:181], s[20:21], -v[186:187]
	v_fmac_f64_e32 v[188:189], s[14:15], v[240:241]
	v_add_f64 v[186:187], v[152:153], v[156:157]
	v_mul_f64 v[214:215], v[194:195], s[38:39]
	v_add_f64 v[168:169], v[188:189], v[168:169]
	v_add_f64 v[188:189], v[154:155], v[158:159]
	v_fma_f64 v[216:217], s[18:19], v[186:187], v[214:215]
	v_add_f64 v[170:171], v[180:181], v[170:171]
	v_add_f64 v[180:181], v[152:153], -v[156:157]
	v_add_f64 v[164:165], v[216:217], v[164:165]
	v_mul_f64 v[216:217], v[188:189], s[18:19]
	v_fma_f64 v[218:219], s[16:17], v[180:181], v[216:217]
	v_fmac_f64_e32 v[216:217], s[38:39], v[180:181]
	v_fma_f64 v[214:215], v[186:187], s[18:19], -v[214:215]
	v_add_f64 v[162:163], v[216:217], v[162:163]
	v_mul_f64 v[216:217], v[194:195], s[22:23]
	v_add_f64 v[166:167], v[218:219], v[166:167]
	v_add_f64 v[160:161], v[214:215], v[160:161]
	v_fma_f64 v[214:215], s[24:25], v[186:187], v[216:217]
	v_mul_f64 v[218:219], v[188:189], s[24:25]
	v_add_f64 v[212:213], v[214:215], v[212:213]
	v_fma_f64 v[214:215], s[34:35], v[180:181], v[218:219]
	v_add_f64 v[214:215], v[214:215], v[210:211]
	v_fma_f64 v[210:211], v[186:187], s[24:25], -v[216:217]
	v_fmac_f64_e32 v[218:219], s[22:23], v[180:181]
	v_mul_f64 v[216:217], v[194:195], s[40:41]
	v_add_f64 v[208:209], v[210:211], v[208:209]
	v_add_f64 v[210:211], v[218:219], v[206:207]
	v_fma_f64 v[206:207], s[12:13], v[186:187], v[216:217]
	v_mul_f64 v[218:219], v[188:189], s[12:13]
	v_add_f64 v[204:205], v[206:207], v[204:205]
	v_fma_f64 v[206:207], s[8:9], v[180:181], v[218:219]
	v_add_f64 v[206:207], v[206:207], v[202:203]
	v_fma_f64 v[202:203], v[186:187], s[12:13], -v[216:217]
	v_add_f64 v[216:217], v[202:203], v[192:193]
	v_fmac_f64_e32 v[218:219], s[40:41], v[180:181]
	v_mul_f64 v[202:203], v[194:195], s[14:15]
	v_add_f64 v[218:219], v[218:219], v[190:191]
	v_fma_f64 v[190:191], s[20:21], v[186:187], v[202:203]
	v_add_f64 v[190:191], v[190:191], v[184:185]
	v_mul_f64 v[184:185], v[188:189], s[20:21]
	v_fma_f64 v[192:193], s[36:37], v[180:181], v[184:185]
	v_mul_f64 v[152:153], v[194:195], s[28:29]
	v_add_f64 v[192:193], v[192:193], v[182:183]
	v_fma_f64 v[182:183], v[186:187], s[20:21], -v[202:203]
	v_fma_f64 v[154:155], s[30:31], v[186:187], v[152:153]
	v_add_f64 v[182:183], v[182:183], v[178:179]
	v_fmac_f64_e32 v[184:185], s[14:15], v[180:181]
	v_mul_f64 v[178:179], v[194:195], s[26:27]
	v_add_f64 v[156:157], v[154:155], v[244:245]
	v_mul_f64 v[154:155], v[188:189], s[30:31]
	v_add_f64 v[184:185], v[184:185], v[176:177]
	v_fma_f64 v[176:177], s[6:7], v[186:187], v[178:179]
	v_mul_f64 v[188:189], v[188:189], s[6:7]
	v_add_f64 v[172:173], v[172:173], v[234:235]
	v_add_f64 v[174:175], v[176:177], v[174:175]
	v_fma_f64 v[176:177], s[2:3], v[180:181], v[188:189]
	v_fma_f64 v[158:159], s[42:43], v[180:181], v[154:155]
	v_fma_f64 v[152:153], v[186:187], s[30:31], -v[152:153]
	v_fmac_f64_e32 v[154:155], s[28:29], v[180:181]
	v_add_f64 v[176:177], v[176:177], v[172:173]
	v_fma_f64 v[172:173], v[186:187], s[6:7], -v[178:179]
	v_fmac_f64_e32 v[188:189], s[26:27], v[180:181]
	v_add_f64 v[158:159], v[158:159], v[246:247]
	v_add_f64 v[152:153], v[152:153], v[248:249]
	;; [unrolled: 1-line block ×5, first 2 shown]
	s_barrier
	ds_write_b128 v199, v[148:151]
	ds_write_b128 v199, v[156:159] offset:16
	ds_write_b128 v199, v[164:167] offset:32
	ds_write_b128 v199, v[212:215] offset:48
	ds_write_b128 v199, v[204:207] offset:64
	ds_write_b128 v199, v[190:193] offset:80
	ds_write_b128 v199, v[174:177] offset:96
	ds_write_b128 v199, v[170:173] offset:112
	ds_write_b128 v199, v[182:185] offset:128
	ds_write_b128 v199, v[216:219] offset:144
	ds_write_b128 v199, v[208:211] offset:160
	ds_write_b128 v199, v[160:163] offset:176
	ds_write_b128 v199, v[152:155] offset:192
	s_waitcnt lgkmcnt(0)
	s_barrier
	ds_read_b128 v[148:151], v196
	ds_read_b128 v[152:155], v196 offset:2704
	ds_read_b128 v[156:159], v196 offset:5408
	;; [unrolled: 1-line block ×12, first 2 shown]
	s_waitcnt lgkmcnt(11)
	v_mul_f64 v[206:207], v[66:67], v[154:155]
	v_fmac_f64_e32 v[206:207], v[64:65], v[152:153]
	v_mul_f64 v[66:67], v[66:67], v[152:153]
	s_waitcnt lgkmcnt(8)
	v_mul_f64 v[152:153], v[54:55], v[166:167]
	v_mul_f64 v[54:55], v[54:55], v[164:165]
	v_fma_f64 v[208:209], v[64:65], v[154:155], -v[66:67]
	v_mul_f64 v[210:211], v[62:63], v[158:159]
	v_fmac_f64_e32 v[152:153], v[52:53], v[164:165]
	v_fma_f64 v[154:155], v[52:53], v[166:167], -v[54:55]
	s_waitcnt lgkmcnt(7)
	v_mul_f64 v[52:53], v[82:83], v[168:169]
	v_fmac_f64_e32 v[210:211], v[60:61], v[156:157]
	v_mul_f64 v[62:63], v[62:63], v[156:157]
	v_mul_f64 v[156:157], v[58:59], v[162:163]
	;; [unrolled: 1-line block ×3, first 2 shown]
	v_fma_f64 v[66:67], v[80:81], v[170:171], -v[52:53]
	s_waitcnt lgkmcnt(6)
	v_mul_f64 v[52:53], v[78:79], v[172:173]
	v_fma_f64 v[212:213], v[60:61], v[158:159], -v[62:63]
	v_fma_f64 v[158:159], v[56:57], v[162:163], -v[58:59]
	v_fma_f64 v[58:59], v[76:77], v[174:175], -v[52:53]
	s_waitcnt lgkmcnt(5)
	v_mul_f64 v[60:61], v[74:75], v[178:179]
	v_mul_f64 v[52:53], v[74:75], v[176:177]
	v_fmac_f64_e32 v[60:61], v[72:73], v[176:177]
	v_fma_f64 v[62:63], v[72:73], v[178:179], -v[52:53]
	s_waitcnt lgkmcnt(4)
	v_mul_f64 v[72:73], v[70:71], v[182:183]
	v_mul_f64 v[52:53], v[70:71], v[180:181]
	v_fmac_f64_e32 v[72:73], v[68:69], v[180:181]
	v_fma_f64 v[68:69], v[68:69], v[182:183], -v[52:53]
	s_waitcnt lgkmcnt(3)
	v_mul_f64 v[52:53], v[98:99], v[184:185]
	v_mul_f64 v[64:65], v[82:83], v[170:171]
	v_fma_f64 v[74:75], v[96:97], v[186:187], -v[52:53]
	s_waitcnt lgkmcnt(2)
	v_mul_f64 v[52:53], v[94:95], v[188:189]
	v_fmac_f64_e32 v[156:157], v[56:57], v[160:161]
	v_fmac_f64_e32 v[64:65], v[80:81], v[168:169]
	v_mul_f64 v[56:57], v[78:79], v[174:175]
	v_fma_f64 v[78:79], v[92:93], v[190:191], -v[52:53]
	s_waitcnt lgkmcnt(1)
	v_mul_f64 v[80:81], v[90:91], v[194:195]
	v_mul_f64 v[52:53], v[90:91], v[192:193]
	v_fmac_f64_e32 v[80:81], v[88:89], v[192:193]
	v_fma_f64 v[82:83], v[88:89], v[194:195], -v[52:53]
	s_waitcnt lgkmcnt(0)
	v_mul_f64 v[88:89], v[86:87], v[204:205]
	v_mul_f64 v[52:53], v[86:87], v[202:203]
	v_fmac_f64_e32 v[88:89], v[84:85], v[202:203]
	v_fma_f64 v[84:85], v[84:85], v[204:205], -v[52:53]
	v_add_f64 v[52:53], v[148:149], v[206:207]
	v_add_f64 v[54:55], v[150:151], v[208:209]
	v_add_f64 v[52:53], v[52:53], v[210:211]
	v_add_f64 v[54:55], v[54:55], v[212:213]
	v_add_f64 v[52:53], v[52:53], v[156:157]
	v_add_f64 v[54:55], v[54:55], v[158:159]
	v_add_f64 v[52:53], v[52:53], v[152:153]
	v_add_f64 v[54:55], v[54:55], v[154:155]
	v_fmac_f64_e32 v[56:57], v[76:77], v[172:173]
	v_add_f64 v[52:53], v[52:53], v[64:65]
	v_add_f64 v[54:55], v[54:55], v[66:67]
	;; [unrolled: 1-line block ×4, first 2 shown]
	v_mul_f64 v[70:71], v[98:99], v[186:187]
	v_add_f64 v[52:53], v[52:53], v[60:61]
	v_add_f64 v[54:55], v[54:55], v[62:63]
	v_fmac_f64_e32 v[70:71], v[96:97], v[184:185]
	v_mul_f64 v[76:77], v[94:95], v[190:191]
	v_add_f64 v[52:53], v[52:53], v[72:73]
	v_add_f64 v[54:55], v[54:55], v[68:69]
	v_fmac_f64_e32 v[76:77], v[92:93], v[188:189]
	v_add_f64 v[52:53], v[52:53], v[70:71]
	v_add_f64 v[54:55], v[54:55], v[74:75]
	;; [unrolled: 1-line block ×10, first 2 shown]
	v_add_f64 v[88:89], v[206:207], -v[88:89]
	v_add_f64 v[84:85], v[208:209], -v[84:85]
	v_mul_f64 v[96:97], v[90:91], s[18:19]
	v_mul_f64 v[164:165], v[90:91], s[12:13]
	;; [unrolled: 1-line block ×12, first 2 shown]
	v_fma_f64 v[194:195], s[42:43], v[88:89], v[90:91]
	v_fmac_f64_e32 v[90:91], s[28:29], v[88:89]
	v_fma_f64 v[94:95], s[18:19], v[86:87], v[92:93]
	v_fma_f64 v[92:93], v[86:87], s[18:19], -v[92:93]
	v_fma_f64 v[162:163], s[12:13], v[86:87], v[160:161]
	v_fma_f64 v[160:161], v[86:87], s[12:13], -v[160:161]
	;; [unrolled: 2-line block ×6, first 2 shown]
	v_add_f64 v[86:87], v[150:151], v[90:91]
	v_add_f64 v[90:91], v[212:213], v[82:83]
	v_add_f64 v[82:83], v[212:213], -v[82:83]
	v_add_f64 v[94:95], v[148:149], v[94:95]
	v_fma_f64 v[98:99], s[38:39], v[88:89], v[96:97]
	v_add_f64 v[92:93], v[148:149], v[92:93]
	v_fmac_f64_e32 v[96:97], s[16:17], v[88:89]
	v_add_f64 v[162:163], v[148:149], v[162:163]
	v_fma_f64 v[166:167], s[40:41], v[88:89], v[164:165]
	v_add_f64 v[160:161], v[148:149], v[160:161]
	v_fmac_f64_e32 v[164:165], s[8:9], v[88:89]
	;; [unrolled: 4-line block ×5, first 2 shown]
	v_add_f64 v[192:193], v[148:149], v[192:193]
	v_add_f64 v[84:85], v[148:149], v[84:85]
	;; [unrolled: 1-line block ×3, first 2 shown]
	v_mul_f64 v[148:149], v[82:83], s[8:9]
	v_add_f64 v[98:99], v[150:151], v[98:99]
	v_add_f64 v[96:97], v[150:151], v[96:97]
	;; [unrolled: 1-line block ×11, first 2 shown]
	v_fma_f64 v[150:151], s[12:13], v[88:89], v[148:149]
	v_add_f64 v[80:81], v[210:211], -v[80:81]
	v_add_f64 v[94:95], v[150:151], v[94:95]
	v_mul_f64 v[150:151], v[90:91], s[12:13]
	v_fma_f64 v[148:149], v[88:89], s[12:13], -v[148:149]
	v_fma_f64 v[202:203], s[40:41], v[80:81], v[150:151]
	v_add_f64 v[92:93], v[148:149], v[92:93]
	v_fmac_f64_e32 v[150:151], s[8:9], v[80:81]
	v_mul_f64 v[148:149], v[82:83], s[14:15]
	v_add_f64 v[96:97], v[150:151], v[96:97]
	v_fma_f64 v[150:151], s[20:21], v[88:89], v[148:149]
	v_add_f64 v[150:151], v[150:151], v[162:163]
	v_mul_f64 v[162:163], v[90:91], s[20:21]
	v_add_f64 v[98:99], v[202:203], v[98:99]
	v_fma_f64 v[202:203], s[36:37], v[80:81], v[162:163]
	v_fma_f64 v[148:149], v[88:89], s[20:21], -v[148:149]
	v_fmac_f64_e32 v[162:163], s[14:15], v[80:81]
	v_add_f64 v[148:149], v[148:149], v[160:161]
	v_add_f64 v[160:161], v[162:163], v[164:165]
	v_mul_f64 v[162:163], v[82:83], s[28:29]
	v_fma_f64 v[164:165], s[30:31], v[88:89], v[162:163]
	v_add_f64 v[164:165], v[164:165], v[170:171]
	v_mul_f64 v[170:171], v[90:91], s[30:31]
	v_add_f64 v[166:167], v[202:203], v[166:167]
	v_fma_f64 v[202:203], s[42:43], v[80:81], v[170:171]
	v_fma_f64 v[162:163], v[88:89], s[30:31], -v[162:163]
	v_fmac_f64_e32 v[170:171], s[28:29], v[80:81]
	v_add_f64 v[162:163], v[162:163], v[168:169]
	v_add_f64 v[168:169], v[170:171], v[172:173]
	v_mul_f64 v[170:171], v[82:83], s[34:35]
	;; [unrolled: 10-line block ×3, first 2 shown]
	v_fma_f64 v[180:181], s[6:7], v[88:89], v[178:179]
	v_add_f64 v[180:181], v[180:181], v[186:187]
	v_mul_f64 v[186:187], v[90:91], s[6:7]
	v_add_f64 v[182:183], v[202:203], v[182:183]
	v_fma_f64 v[202:203], s[2:3], v[80:81], v[186:187]
	v_fma_f64 v[178:179], v[88:89], s[6:7], -v[178:179]
	v_fmac_f64_e32 v[186:187], s[26:27], v[80:81]
	v_mul_f64 v[90:91], v[90:91], s[18:19]
	v_add_f64 v[178:179], v[178:179], v[184:185]
	v_add_f64 v[184:185], v[186:187], v[188:189]
	v_mul_f64 v[82:83], v[82:83], s[38:39]
	v_fma_f64 v[188:189], s[16:17], v[80:81], v[90:91]
	v_fmac_f64_e32 v[90:91], s[38:39], v[80:81]
	v_fma_f64 v[186:187], s[18:19], v[88:89], v[82:83]
	v_fma_f64 v[82:83], v[88:89], s[18:19], -v[82:83]
	v_add_f64 v[80:81], v[90:91], v[86:87]
	v_add_f64 v[86:87], v[158:159], v[78:79]
	v_add_f64 v[78:79], v[158:159], -v[78:79]
	v_add_f64 v[82:83], v[82:83], v[84:85]
	v_add_f64 v[84:85], v[156:157], v[76:77]
	v_mul_f64 v[88:89], v[78:79], s[2:3]
	v_fma_f64 v[90:91], s[6:7], v[84:85], v[88:89]
	v_add_f64 v[76:77], v[156:157], -v[76:77]
	v_add_f64 v[90:91], v[90:91], v[94:95]
	v_mul_f64 v[94:95], v[86:87], s[6:7]
	v_fma_f64 v[156:157], s[26:27], v[76:77], v[94:95]
	v_fma_f64 v[88:89], v[84:85], s[6:7], -v[88:89]
	v_fmac_f64_e32 v[94:95], s[2:3], v[76:77]
	v_add_f64 v[88:89], v[88:89], v[92:93]
	v_add_f64 v[92:93], v[94:95], v[96:97]
	v_mul_f64 v[94:95], v[78:79], s[28:29]
	v_fma_f64 v[96:97], s[30:31], v[84:85], v[94:95]
	v_add_f64 v[96:97], v[96:97], v[150:151]
	v_mul_f64 v[150:151], v[86:87], s[30:31]
	v_add_f64 v[98:99], v[156:157], v[98:99]
	v_fma_f64 v[156:157], s[42:43], v[76:77], v[150:151]
	v_fma_f64 v[94:95], v[84:85], s[30:31], -v[94:95]
	v_fmac_f64_e32 v[150:151], s[28:29], v[76:77]
	v_add_f64 v[94:95], v[94:95], v[148:149]
	v_add_f64 v[148:149], v[150:151], v[160:161]
	v_mul_f64 v[150:151], v[78:79], s[36:37]
	v_fma_f64 v[158:159], s[20:21], v[84:85], v[150:151]
	v_fma_f64 v[150:151], v[84:85], s[20:21], -v[150:151]
	v_mul_f64 v[160:161], v[86:87], s[20:21]
	v_add_f64 v[150:151], v[150:151], v[162:163]
	v_mul_f64 v[162:163], v[78:79], s[38:39]
	v_add_f64 v[156:157], v[156:157], v[166:167]
	v_add_f64 v[158:159], v[158:159], v[164:165]
	v_fma_f64 v[164:165], s[14:15], v[76:77], v[160:161]
	v_fmac_f64_e32 v[160:161], s[36:37], v[76:77]
	v_fma_f64 v[166:167], s[18:19], v[84:85], v[162:163]
	v_fma_f64 v[162:163], v[84:85], s[18:19], -v[162:163]
	v_add_f64 v[160:161], v[160:161], v[168:169]
	v_mul_f64 v[168:169], v[86:87], s[18:19]
	v_add_f64 v[162:163], v[162:163], v[170:171]
	v_mul_f64 v[170:171], v[78:79], s[8:9]
	v_add_f64 v[164:165], v[164:165], v[174:175]
	v_add_f64 v[166:167], v[166:167], v[172:173]
	v_fma_f64 v[172:173], s[16:17], v[76:77], v[168:169]
	v_fmac_f64_e32 v[168:169], s[38:39], v[76:77]
	v_fma_f64 v[174:175], s[12:13], v[84:85], v[170:171]
	v_fma_f64 v[170:171], v[84:85], s[12:13], -v[170:171]
	v_mul_f64 v[78:79], v[78:79], s[22:23]
	v_add_f64 v[168:169], v[168:169], v[176:177]
	v_mul_f64 v[176:177], v[86:87], s[12:13]
	v_add_f64 v[170:171], v[170:171], v[178:179]
	v_fma_f64 v[178:179], s[24:25], v[84:85], v[78:79]
	v_mul_f64 v[86:87], v[86:87], s[24:25]
	v_fma_f64 v[78:79], v[84:85], s[24:25], -v[78:79]
	v_add_f64 v[172:173], v[172:173], v[182:183]
	v_fma_f64 v[182:183], s[34:35], v[76:77], v[86:87]
	v_add_f64 v[78:79], v[78:79], v[82:83]
	v_fmac_f64_e32 v[86:87], s[22:23], v[76:77]
	v_add_f64 v[82:83], v[154:155], v[74:75]
	v_add_f64 v[74:75], v[154:155], -v[74:75]
	v_add_f64 v[174:175], v[174:175], v[180:181]
	v_fma_f64 v[180:181], s[40:41], v[76:77], v[176:177]
	v_fmac_f64_e32 v[176:177], s[8:9], v[76:77]
	v_add_f64 v[76:77], v[86:87], v[80:81]
	v_add_f64 v[80:81], v[152:153], v[70:71]
	v_mul_f64 v[84:85], v[74:75], s[14:15]
	v_fma_f64 v[86:87], s[20:21], v[80:81], v[84:85]
	v_add_f64 v[70:71], v[152:153], -v[70:71]
	v_add_f64 v[86:87], v[86:87], v[90:91]
	v_mul_f64 v[90:91], v[82:83], s[20:21]
	v_fma_f64 v[152:153], s[36:37], v[70:71], v[90:91]
	v_fma_f64 v[84:85], v[80:81], s[20:21], -v[84:85]
	v_fmac_f64_e32 v[90:91], s[14:15], v[70:71]
	v_add_f64 v[84:85], v[84:85], v[88:89]
	v_add_f64 v[88:89], v[90:91], v[92:93]
	v_mul_f64 v[90:91], v[74:75], s[34:35]
	v_fma_f64 v[92:93], s[24:25], v[80:81], v[90:91]
	v_add_f64 v[92:93], v[92:93], v[96:97]
	v_mul_f64 v[96:97], v[82:83], s[24:25]
	v_add_f64 v[98:99], v[152:153], v[98:99]
	v_fma_f64 v[152:153], s[22:23], v[70:71], v[96:97]
	v_fma_f64 v[90:91], v[80:81], s[24:25], -v[90:91]
	v_fmac_f64_e32 v[96:97], s[34:35], v[70:71]
	v_add_f64 v[90:91], v[90:91], v[94:95]
	v_add_f64 v[94:95], v[96:97], v[148:149]
	v_mul_f64 v[96:97], v[74:75], s[38:39]
	v_mul_f64 v[154:155], v[82:83], s[18:19]
	v_add_f64 v[152:153], v[152:153], v[156:157]
	v_fma_f64 v[148:149], s[18:19], v[80:81], v[96:97]
	v_fma_f64 v[156:157], s[16:17], v[70:71], v[154:155]
	v_fma_f64 v[96:97], v[80:81], s[18:19], -v[96:97]
	v_fmac_f64_e32 v[154:155], s[38:39], v[70:71]
	v_add_f64 v[96:97], v[96:97], v[150:151]
	v_add_f64 v[150:151], v[154:155], v[160:161]
	v_mul_f64 v[154:155], v[74:75], s[2:3]
	v_add_f64 v[148:149], v[148:149], v[158:159]
	v_fma_f64 v[158:159], s[6:7], v[80:81], v[154:155]
	v_mul_f64 v[160:161], v[82:83], s[6:7]
	v_fma_f64 v[154:155], v[80:81], s[6:7], -v[154:155]
	v_add_f64 v[156:157], v[156:157], v[164:165]
	v_fma_f64 v[164:165], s[26:27], v[70:71], v[160:161]
	v_add_f64 v[154:155], v[154:155], v[162:163]
	v_fmac_f64_e32 v[160:161], s[2:3], v[70:71]
	v_mul_f64 v[162:163], v[74:75], s[42:43]
	v_add_f64 v[158:159], v[158:159], v[166:167]
	v_add_f64 v[160:161], v[160:161], v[168:169]
	v_fma_f64 v[166:167], s[30:31], v[80:81], v[162:163]
	v_mul_f64 v[168:169], v[82:83], s[30:31]
	v_mul_f64 v[82:83], v[82:83], s[12:13]
	v_add_f64 v[166:167], v[166:167], v[174:175]
	v_fma_f64 v[174:175], s[8:9], v[70:71], v[82:83]
	v_fmac_f64_e32 v[82:83], s[40:41], v[70:71]
	v_add_f64 v[176:177], v[176:177], v[184:185]
	v_add_f64 v[164:165], v[164:165], v[172:173]
	v_fma_f64 v[172:173], s[28:29], v[70:71], v[168:169]
	v_fmac_f64_e32 v[168:169], s[42:43], v[70:71]
	v_add_f64 v[70:71], v[82:83], v[76:77]
	v_add_f64 v[76:77], v[66:67], v[68:69]
	v_add_f64 v[66:67], v[66:67], -v[68:69]
	v_add_f64 v[186:187], v[186:187], v[192:193]
	v_fma_f64 v[162:163], v[80:81], s[30:31], -v[162:163]
	v_add_f64 v[168:169], v[168:169], v[176:177]
	v_mul_f64 v[74:75], v[74:75], s[40:41]
	v_add_f64 v[176:177], v[64:65], v[72:73]
	v_mul_f64 v[68:69], v[66:67], s[22:23]
	v_add_f64 v[178:179], v[178:179], v[186:187]
	v_add_f64 v[162:163], v[162:163], v[170:171]
	v_fma_f64 v[170:171], s[12:13], v[80:81], v[74:75]
	v_add_f64 v[64:65], v[64:65], -v[72:73]
	v_fma_f64 v[72:73], s[24:25], v[176:177], v[68:69]
	v_add_f64 v[188:189], v[188:189], v[194:195]
	v_add_f64 v[170:171], v[170:171], v[178:179]
	v_fma_f64 v[74:75], v[80:81], s[12:13], -v[74:75]
	v_add_f64 v[178:179], v[72:73], v[86:87]
	v_mul_f64 v[72:73], v[76:77], s[24:25]
	v_add_f64 v[190:191], v[202:203], v[190:191]
	v_add_f64 v[182:183], v[182:183], v[188:189]
	;; [unrolled: 1-line block ×3, first 2 shown]
	v_fma_f64 v[78:79], s[34:35], v[64:65], v[72:73]
	v_fmac_f64_e32 v[72:73], s[22:23], v[64:65]
	v_add_f64 v[180:181], v[180:181], v[190:191]
	v_add_f64 v[174:175], v[174:175], v[182:183]
	;; [unrolled: 1-line block ×3, first 2 shown]
	v_mul_f64 v[72:73], v[66:67], s[26:27]
	v_add_f64 v[172:173], v[172:173], v[180:181]
	v_add_f64 v[180:181], v[78:79], v[98:99]
	v_fma_f64 v[78:79], s[6:7], v[176:177], v[72:73]
	v_add_f64 v[184:185], v[78:79], v[92:93]
	v_mul_f64 v[78:79], v[76:77], s[6:7]
	v_fma_f64 v[72:73], v[176:177], s[6:7], -v[72:73]
	v_fma_f64 v[80:81], s[2:3], v[64:65], v[78:79]
	v_add_f64 v[186:187], v[72:73], v[90:91]
	v_fmac_f64_e32 v[78:79], s[26:27], v[64:65]
	v_mul_f64 v[72:73], v[66:67], s[8:9]
	v_add_f64 v[188:189], v[78:79], v[94:95]
	v_fma_f64 v[78:79], s[12:13], v[176:177], v[72:73]
	v_add_f64 v[190:191], v[78:79], v[148:149]
	v_mul_f64 v[78:79], v[76:77], s[12:13]
	v_fma_f64 v[72:73], v[176:177], s[12:13], -v[72:73]
	v_add_f64 v[152:153], v[80:81], v[152:153]
	v_fma_f64 v[80:81], s[40:41], v[64:65], v[78:79]
	v_add_f64 v[192:193], v[72:73], v[96:97]
	v_fmac_f64_e32 v[78:79], s[8:9], v[64:65]
	v_mul_f64 v[72:73], v[66:67], s[42:43]
	v_add_f64 v[194:195], v[78:79], v[150:151]
	v_fma_f64 v[78:79], s[30:31], v[176:177], v[72:73]
	v_add_f64 v[150:151], v[78:79], v[158:159]
	v_mul_f64 v[78:79], v[76:77], s[30:31]
	v_fma_f64 v[72:73], v[176:177], s[30:31], -v[72:73]
	v_add_f64 v[156:157], v[80:81], v[156:157]
	v_fma_f64 v[80:81], s[28:29], v[64:65], v[78:79]
	v_add_f64 v[98:99], v[72:73], v[154:155]
	v_fmac_f64_e32 v[78:79], s[42:43], v[64:65]
	v_mul_f64 v[72:73], v[66:67], s[38:39]
	v_add_f64 v[94:95], v[78:79], v[160:161]
	v_fma_f64 v[78:79], s[18:19], v[176:177], v[72:73]
	v_add_f64 v[90:91], v[78:79], v[166:167]
	v_mul_f64 v[78:79], v[76:77], s[18:19]
	v_fma_f64 v[72:73], v[176:177], s[18:19], -v[72:73]
	v_mul_f64 v[66:67], v[66:67], s[14:15]
	v_add_f64 v[148:149], v[80:81], v[164:165]
	v_fma_f64 v[80:81], s[16:17], v[64:65], v[78:79]
	v_add_f64 v[82:83], v[72:73], v[162:163]
	v_fmac_f64_e32 v[78:79], s[38:39], v[64:65]
	v_fma_f64 v[72:73], s[20:21], v[176:177], v[66:67]
	v_fma_f64 v[68:69], v[176:177], s[24:25], -v[68:69]
	v_add_f64 v[88:89], v[80:81], v[172:173]
	v_add_f64 v[80:81], v[78:79], v[168:169]
	;; [unrolled: 1-line block ×3, first 2 shown]
	v_mul_f64 v[72:73], v[76:77], s[20:21]
	v_add_f64 v[96:97], v[58:59], -v[62:63]
	v_add_f64 v[68:69], v[68:69], v[84:85]
	v_fma_f64 v[76:77], s[36:37], v[64:65], v[72:73]
	v_fma_f64 v[66:67], v[176:177], s[20:21], -v[66:67]
	v_fmac_f64_e32 v[72:73], s[14:15], v[64:65]
	v_add_f64 v[86:87], v[56:57], v[60:61]
	v_add_f64 v[84:85], v[56:57], -v[60:61]
	v_mul_f64 v[56:57], v[96:97], s[28:29]
	v_mul_f64 v[64:65], v[96:97], s[38:39]
	v_add_f64 v[74:75], v[66:67], v[74:75]
	v_add_f64 v[92:93], v[58:59], v[62:63]
	v_fma_f64 v[58:59], s[30:31], v[86:87], v[56:57]
	v_fma_f64 v[56:57], v[86:87], s[30:31], -v[56:57]
	v_fma_f64 v[66:67], s[18:19], v[86:87], v[64:65]
	v_add_f64 v[56:57], v[56:57], v[68:69]
	v_add_f64 v[68:69], v[66:67], v[184:185]
	v_mul_f64 v[66:67], v[92:93], s[18:19]
	v_mul_f64 v[160:161], v[92:93], s[24:25]
	v_add_f64 v[72:73], v[72:73], v[70:71]
	v_fma_f64 v[70:71], s[16:17], v[84:85], v[66:67]
	v_mul_f64 v[158:159], v[96:97], s[22:23]
	v_fma_f64 v[154:155], s[34:35], v[84:85], v[160:161]
	v_fmac_f64_e32 v[160:161], s[22:23], v[84:85]
	v_mul_f64 v[164:165], v[96:97], s[40:41]
	v_add_f64 v[70:71], v[70:71], v[152:153]
	v_fma_f64 v[152:153], s[24:25], v[86:87], v[158:159]
	v_add_f64 v[154:155], v[154:155], v[156:157]
	v_fma_f64 v[156:157], v[86:87], s[24:25], -v[158:159]
	v_add_f64 v[158:159], v[160:161], v[194:195]
	v_fma_f64 v[160:161], s[12:13], v[86:87], v[164:165]
	v_add_f64 v[160:161], v[160:161], v[150:151]
	v_mul_f64 v[150:151], v[92:93], s[12:13]
	v_fma_f64 v[162:163], s[8:9], v[84:85], v[150:151]
	v_fmac_f64_e32 v[150:151], s[40:41], v[84:85]
	v_add_f64 v[162:163], v[162:163], v[148:149]
	v_fma_f64 v[148:149], v[86:87], s[12:13], -v[164:165]
	v_add_f64 v[150:151], v[150:151], v[94:95]
	v_mul_f64 v[94:95], v[96:97], s[14:15]
	v_add_f64 v[148:149], v[148:149], v[98:99]
	v_fma_f64 v[98:99], s[20:21], v[86:87], v[94:95]
	v_add_f64 v[164:165], v[98:99], v[90:91]
	v_mul_f64 v[90:91], v[92:93], s[20:21]
	v_fma_f64 v[98:99], s[36:37], v[84:85], v[90:91]
	v_add_f64 v[166:167], v[98:99], v[88:89]
	v_fma_f64 v[88:89], v[86:87], s[20:21], -v[94:95]
	v_add_f64 v[88:89], v[88:89], v[82:83]
	v_fmac_f64_e32 v[90:91], s[14:15], v[84:85]
	v_mul_f64 v[82:83], v[96:97], s[26:27]
	v_add_f64 v[60:61], v[58:59], v[178:179]
	v_mul_f64 v[58:59], v[92:93], s[30:31]
	v_add_f64 v[90:91], v[90:91], v[80:81]
	v_fma_f64 v[80:81], s[6:7], v[86:87], v[82:83]
	v_mul_f64 v[92:93], v[92:93], s[6:7]
	v_add_f64 v[76:77], v[76:77], v[174:175]
	v_add_f64 v[78:79], v[80:81], v[78:79]
	v_fma_f64 v[80:81], s[2:3], v[84:85], v[92:93]
	v_fma_f64 v[62:63], s[42:43], v[84:85], v[58:59]
	v_fmac_f64_e32 v[58:59], s[28:29], v[84:85]
	v_fma_f64 v[64:65], v[86:87], s[18:19], -v[64:65]
	v_fmac_f64_e32 v[66:67], s[38:39], v[84:85]
	v_add_f64 v[80:81], v[80:81], v[76:77]
	v_fma_f64 v[76:77], v[86:87], s[6:7], -v[82:83]
	v_add_f64 v[62:63], v[62:63], v[180:181]
	v_add_f64 v[58:59], v[58:59], v[182:183]
	;; [unrolled: 1-line block ×7, first 2 shown]
	v_fmac_f64_e32 v[92:93], s[26:27], v[84:85]
	v_add_f64 v[76:77], v[92:93], v[72:73]
	s_barrier
	ds_write_b128 v232, v[52:55]
	ds_write_b128 v232, v[60:63] offset:208
	ds_write_b128 v232, v[68:71] offset:416
	;; [unrolled: 1-line block ×12, first 2 shown]
	s_waitcnt lgkmcnt(0)
	s_barrier
	ds_read_b128 v[56:59], v196
	ds_read_b128 v[52:55], v196 offset:2704
	ds_read_b128 v[60:63], v196 offset:5408
	;; [unrolled: 1-line block ×12, first 2 shown]
	s_waitcnt lgkmcnt(11)
	v_mul_f64 v[156:157], v[114:115], v[54:55]
	v_fmac_f64_e32 v[156:157], v[112:113], v[52:53]
	v_mul_f64 v[52:53], v[114:115], v[52:53]
	v_fma_f64 v[112:113], v[112:113], v[54:55], -v[52:53]
	s_waitcnt lgkmcnt(10)
	v_mul_f64 v[114:115], v[110:111], v[62:63]
	v_mul_f64 v[52:53], v[110:111], v[60:61]
	v_fmac_f64_e32 v[114:115], v[108:109], v[60:61]
	v_fma_f64 v[108:109], v[108:109], v[62:63], -v[52:53]
	s_waitcnt lgkmcnt(9)
	v_mul_f64 v[110:111], v[106:107], v[66:67]
	v_mul_f64 v[52:53], v[106:107], v[64:65]
	v_fmac_f64_e32 v[110:111], v[104:105], v[64:65]
	v_fma_f64 v[104:105], v[104:105], v[66:67], -v[52:53]
	s_waitcnt lgkmcnt(8)
	v_mul_f64 v[52:53], v[102:103], v[68:69]
	v_fma_f64 v[78:79], v[100:101], v[70:71], -v[52:53]
	s_waitcnt lgkmcnt(7)
	v_mul_f64 v[52:53], v[130:131], v[72:73]
	v_mul_f64 v[76:77], v[102:103], v[70:71]
	v_fma_f64 v[70:71], v[128:129], v[74:75], -v[52:53]
	s_waitcnt lgkmcnt(6)
	v_mul_f64 v[52:53], v[126:127], v[80:81]
	v_fma_f64 v[62:63], v[124:125], v[82:83], -v[52:53]
	s_waitcnt lgkmcnt(5)
	;; [unrolled: 3-line block ×3, first 2 shown]
	v_mul_f64 v[52:53], v[118:119], v[88:89]
	v_fmac_f64_e32 v[76:77], v[100:101], v[68:69]
	v_mul_f64 v[68:69], v[130:131], v[74:75]
	v_fma_f64 v[74:75], v[116:117], v[90:91], -v[52:53]
	s_waitcnt lgkmcnt(3)
	v_mul_f64 v[52:53], v[146:147], v[92:93]
	v_mul_f64 v[60:61], v[126:127], v[82:83]
	v_fma_f64 v[82:83], v[144:145], v[94:95], -v[52:53]
	s_waitcnt lgkmcnt(2)
	v_mul_f64 v[52:53], v[142:143], v[96:97]
	v_add_f64 v[54:55], v[58:59], v[112:113]
	v_mul_f64 v[64:65], v[122:123], v[86:87]
	v_fma_f64 v[86:87], v[140:141], v[98:99], -v[52:53]
	s_waitcnt lgkmcnt(1)
	v_mul_f64 v[52:53], v[138:139], v[148:149]
	v_add_f64 v[54:55], v[54:55], v[108:109]
	v_fmac_f64_e32 v[68:69], v[128:129], v[72:73]
	v_mul_f64 v[72:73], v[118:119], v[90:91]
	v_fma_f64 v[90:91], v[136:137], v[150:151], -v[52:53]
	s_waitcnt lgkmcnt(0)
	v_mul_f64 v[52:53], v[134:135], v[152:153]
	v_add_f64 v[54:55], v[54:55], v[104:105]
	v_fmac_f64_e32 v[60:61], v[124:125], v[80:81]
	v_mul_f64 v[80:81], v[146:147], v[94:95]
	v_fma_f64 v[94:95], v[132:133], v[154:155], -v[52:53]
	v_add_f64 v[52:53], v[56:57], v[156:157]
	v_add_f64 v[54:55], v[54:55], v[78:79]
	;; [unrolled: 1-line block ×10, first 2 shown]
	v_fmac_f64_e32 v[64:65], v[120:121], v[84:85]
	v_add_f64 v[52:53], v[52:53], v[60:61]
	v_add_f64 v[54:55], v[54:55], v[82:83]
	v_fmac_f64_e32 v[72:73], v[116:117], v[88:89]
	v_add_f64 v[52:53], v[52:53], v[64:65]
	v_add_f64 v[54:55], v[54:55], v[86:87]
	v_fmac_f64_e32 v[80:81], v[144:145], v[92:93]
	v_mul_f64 v[84:85], v[142:143], v[98:99]
	v_mul_f64 v[92:93], v[134:135], v[154:155]
	v_add_f64 v[52:53], v[52:53], v[72:73]
	v_add_f64 v[54:55], v[54:55], v[90:91]
	v_fmac_f64_e32 v[84:85], v[140:141], v[96:97]
	v_mul_f64 v[88:89], v[138:139], v[150:151]
	v_fmac_f64_e32 v[92:93], v[132:133], v[152:153]
	v_add_f64 v[52:53], v[52:53], v[80:81]
	v_add_f64 v[54:55], v[54:55], v[94:95]
	;; [unrolled: 1-line block ×3, first 2 shown]
	v_add_f64 v[94:95], v[112:113], -v[94:95]
	v_fmac_f64_e32 v[88:89], v[136:137], v[148:149]
	v_add_f64 v[52:53], v[52:53], v[84:85]
	v_add_f64 v[96:97], v[156:157], v[92:93]
	v_mul_f64 v[100:101], v[94:95], s[16:17]
	v_mul_f64 v[116:117], v[94:95], s[8:9]
	;; [unrolled: 1-line block ×6, first 2 shown]
	v_add_f64 v[52:53], v[52:53], v[88:89]
	v_fma_f64 v[102:103], s[18:19], v[96:97], v[100:101]
	v_fma_f64 v[100:101], v[96:97], s[18:19], -v[100:101]
	v_fma_f64 v[118:119], s[12:13], v[96:97], v[116:117]
	v_fma_f64 v[116:117], v[96:97], s[12:13], -v[116:117]
	;; [unrolled: 2-line block ×6, first 2 shown]
	v_add_f64 v[52:53], v[52:53], v[92:93]
	v_add_f64 v[92:93], v[156:157], -v[92:93]
	v_add_f64 v[102:103], v[56:57], v[102:103]
	v_mul_f64 v[106:107], v[98:99], s[18:19]
	v_add_f64 v[100:101], v[56:57], v[100:101]
	v_add_f64 v[118:119], v[56:57], v[118:119]
	v_mul_f64 v[120:121], v[98:99], s[12:13]
	v_add_f64 v[116:117], v[56:57], v[116:117]
	;; [unrolled: 3-line block ×6, first 2 shown]
	v_add_f64 v[94:95], v[108:109], v[90:91]
	v_add_f64 v[90:91], v[108:109], -v[90:91]
	v_fma_f64 v[112:113], s[38:39], v[92:93], v[106:107]
	v_fmac_f64_e32 v[106:107], s[16:17], v[92:93]
	v_fma_f64 v[122:123], s[40:41], v[92:93], v[120:121]
	v_fmac_f64_e32 v[120:121], s[8:9], v[92:93]
	;; [unrolled: 2-line block ×6, first 2 shown]
	v_add_f64 v[92:93], v[114:115], v[88:89]
	v_mul_f64 v[96:97], v[90:91], s[8:9]
	v_add_f64 v[112:113], v[58:59], v[112:113]
	v_add_f64 v[106:107], v[58:59], v[106:107]
	;; [unrolled: 1-line block ×12, first 2 shown]
	v_fma_f64 v[98:99], s[12:13], v[92:93], v[96:97]
	v_add_f64 v[88:89], v[114:115], -v[88:89]
	v_add_f64 v[98:99], v[98:99], v[102:103]
	v_mul_f64 v[102:103], v[94:95], s[12:13]
	v_fma_f64 v[108:109], s[40:41], v[88:89], v[102:103]
	v_fma_f64 v[96:97], v[92:93], s[12:13], -v[96:97]
	v_fmac_f64_e32 v[102:103], s[8:9], v[88:89]
	v_add_f64 v[96:97], v[96:97], v[100:101]
	v_add_f64 v[100:101], v[102:103], v[106:107]
	v_mul_f64 v[102:103], v[90:91], s[14:15]
	v_fma_f64 v[106:107], s[20:21], v[92:93], v[102:103]
	v_fma_f64 v[102:103], v[92:93], s[20:21], -v[102:103]
	v_add_f64 v[102:103], v[102:103], v[116:117]
	v_mul_f64 v[116:117], v[90:91], s[28:29]
	v_add_f64 v[108:109], v[108:109], v[112:113]
	v_add_f64 v[106:107], v[106:107], v[118:119]
	v_mul_f64 v[112:113], v[94:95], s[20:21]
	v_fma_f64 v[118:119], s[30:31], v[92:93], v[116:117]
	v_fma_f64 v[116:117], v[92:93], s[30:31], -v[116:117]
	v_fma_f64 v[114:115], s[36:37], v[88:89], v[112:113]
	v_fmac_f64_e32 v[112:113], s[14:15], v[88:89]
	v_add_f64 v[116:117], v[116:117], v[124:125]
	v_mul_f64 v[124:125], v[90:91], s[34:35]
	v_add_f64 v[112:113], v[112:113], v[120:121]
	v_add_f64 v[118:119], v[118:119], v[126:127]
	v_mul_f64 v[120:121], v[94:95], s[30:31]
	v_fma_f64 v[126:127], s[24:25], v[92:93], v[124:125]
	v_fma_f64 v[124:125], v[92:93], s[24:25], -v[124:125]
	v_add_f64 v[114:115], v[114:115], v[122:123]
	v_fma_f64 v[122:123], s[42:43], v[88:89], v[120:121]
	v_fmac_f64_e32 v[120:121], s[28:29], v[88:89]
	v_add_f64 v[124:125], v[124:125], v[132:133]
	v_mul_f64 v[132:133], v[90:91], s[26:27]
	v_add_f64 v[120:121], v[120:121], v[128:129]
	v_add_f64 v[126:127], v[126:127], v[134:135]
	v_mul_f64 v[128:129], v[94:95], s[24:25]
	v_fma_f64 v[134:135], s[6:7], v[92:93], v[132:133]
	v_fma_f64 v[132:133], v[92:93], s[6:7], -v[132:133]
	v_mul_f64 v[90:91], v[90:91], s[38:39]
	v_add_f64 v[122:123], v[122:123], v[130:131]
	v_fma_f64 v[130:131], s[22:23], v[88:89], v[128:129]
	v_fmac_f64_e32 v[128:129], s[34:35], v[88:89]
	v_add_f64 v[132:133], v[132:133], v[140:141]
	v_fma_f64 v[140:141], s[18:19], v[92:93], v[90:91]
	v_fma_f64 v[90:91], v[92:93], s[18:19], -v[90:91]
	v_add_f64 v[128:129], v[128:129], v[136:137]
	v_mul_f64 v[136:137], v[94:95], s[6:7]
	v_mul_f64 v[94:95], v[94:95], s[18:19]
	v_add_f64 v[56:57], v[90:91], v[56:57]
	v_add_f64 v[90:91], v[104:105], v[86:87]
	v_add_f64 v[86:87], v[104:105], -v[86:87]
	v_add_f64 v[130:131], v[130:131], v[138:139]
	v_add_f64 v[134:135], v[134:135], v[142:143]
	v_fma_f64 v[138:139], s[2:3], v[88:89], v[136:137]
	v_fmac_f64_e32 v[136:137], s[26:27], v[88:89]
	v_fma_f64 v[142:143], s[16:17], v[88:89], v[94:95]
	v_fmac_f64_e32 v[94:95], s[38:39], v[88:89]
	v_add_f64 v[88:89], v[110:111], v[84:85]
	v_mul_f64 v[92:93], v[86:87], s[2:3]
	v_add_f64 v[58:59], v[94:95], v[58:59]
	v_fma_f64 v[94:95], s[6:7], v[88:89], v[92:93]
	v_add_f64 v[84:85], v[110:111], -v[84:85]
	v_add_f64 v[94:95], v[94:95], v[98:99]
	v_mul_f64 v[98:99], v[90:91], s[6:7]
	v_fma_f64 v[104:105], s[26:27], v[84:85], v[98:99]
	v_fma_f64 v[92:93], v[88:89], s[6:7], -v[92:93]
	v_fmac_f64_e32 v[98:99], s[2:3], v[84:85]
	v_add_f64 v[92:93], v[92:93], v[96:97]
	v_add_f64 v[96:97], v[98:99], v[100:101]
	v_mul_f64 v[98:99], v[86:87], s[28:29]
	v_fma_f64 v[100:101], s[30:31], v[88:89], v[98:99]
	v_add_f64 v[100:101], v[100:101], v[106:107]
	v_mul_f64 v[106:107], v[90:91], s[30:31]
	v_add_f64 v[104:105], v[104:105], v[108:109]
	v_fma_f64 v[108:109], s[42:43], v[84:85], v[106:107]
	v_fma_f64 v[98:99], v[88:89], s[30:31], -v[98:99]
	v_fmac_f64_e32 v[106:107], s[28:29], v[84:85]
	v_add_f64 v[98:99], v[98:99], v[102:103]
	v_add_f64 v[102:103], v[106:107], v[112:113]
	v_mul_f64 v[106:107], v[86:87], s[36:37]
	v_fma_f64 v[110:111], s[20:21], v[88:89], v[106:107]
	v_fma_f64 v[106:107], v[88:89], s[20:21], -v[106:107]
	v_add_f64 v[106:107], v[106:107], v[116:117]
	v_mul_f64 v[116:117], v[86:87], s[38:39]
	v_add_f64 v[110:111], v[110:111], v[118:119]
	v_mul_f64 v[112:113], v[90:91], s[20:21]
	v_fma_f64 v[118:119], s[18:19], v[88:89], v[116:117]
	v_fma_f64 v[116:117], v[88:89], s[18:19], -v[116:117]
	v_add_f64 v[108:109], v[108:109], v[114:115]
	v_fma_f64 v[114:115], s[14:15], v[84:85], v[112:113]
	v_fmac_f64_e32 v[112:113], s[36:37], v[84:85]
	v_add_f64 v[116:117], v[116:117], v[124:125]
	v_mul_f64 v[124:125], v[86:87], s[8:9]
	v_add_f64 v[112:113], v[112:113], v[120:121]
	v_add_f64 v[118:119], v[118:119], v[126:127]
	v_mul_f64 v[120:121], v[90:91], s[18:19]
	v_fma_f64 v[126:127], s[12:13], v[88:89], v[124:125]
	v_fma_f64 v[124:125], v[88:89], s[12:13], -v[124:125]
	v_mul_f64 v[86:87], v[86:87], s[22:23]
	v_add_f64 v[114:115], v[114:115], v[122:123]
	v_fma_f64 v[122:123], s[16:17], v[84:85], v[120:121]
	v_fmac_f64_e32 v[120:121], s[38:39], v[84:85]
	v_add_f64 v[124:125], v[124:125], v[132:133]
	v_fma_f64 v[132:133], s[24:25], v[88:89], v[86:87]
	v_fma_f64 v[86:87], v[88:89], s[24:25], -v[86:87]
	v_add_f64 v[120:121], v[120:121], v[128:129]
	v_mul_f64 v[128:129], v[90:91], s[12:13]
	v_mul_f64 v[90:91], v[90:91], s[24:25]
	v_add_f64 v[56:57], v[86:87], v[56:57]
	v_add_f64 v[86:87], v[78:79], v[82:83]
	v_add_f64 v[78:79], v[78:79], -v[82:83]
	v_add_f64 v[122:123], v[122:123], v[130:131]
	v_add_f64 v[126:127], v[126:127], v[134:135]
	v_fma_f64 v[130:131], s[40:41], v[84:85], v[128:129]
	v_fmac_f64_e32 v[128:129], s[8:9], v[84:85]
	v_fma_f64 v[134:135], s[34:35], v[84:85], v[90:91]
	v_fmac_f64_e32 v[90:91], s[22:23], v[84:85]
	v_add_f64 v[84:85], v[76:77], v[80:81]
	v_add_f64 v[76:77], v[76:77], -v[80:81]
	v_mul_f64 v[80:81], v[78:79], s[14:15]
	v_fma_f64 v[82:83], s[20:21], v[84:85], v[80:81]
	v_mul_f64 v[88:89], v[86:87], s[20:21]
	v_fma_f64 v[80:81], v[84:85], s[20:21], -v[80:81]
	v_add_f64 v[58:59], v[90:91], v[58:59]
	v_fma_f64 v[90:91], s[36:37], v[76:77], v[88:89]
	v_add_f64 v[80:81], v[80:81], v[92:93]
	v_fmac_f64_e32 v[88:89], s[14:15], v[76:77]
	v_mul_f64 v[92:93], v[78:79], s[34:35]
	v_add_f64 v[82:83], v[82:83], v[94:95]
	v_add_f64 v[88:89], v[88:89], v[96:97]
	v_fma_f64 v[94:95], s[24:25], v[84:85], v[92:93]
	v_mul_f64 v[96:97], v[86:87], s[24:25]
	v_fma_f64 v[92:93], v[84:85], s[24:25], -v[92:93]
	v_add_f64 v[94:95], v[94:95], v[100:101]
	v_fma_f64 v[100:101], s[22:23], v[76:77], v[96:97]
	v_add_f64 v[92:93], v[92:93], v[98:99]
	v_fmac_f64_e32 v[96:97], s[34:35], v[76:77]
	v_mul_f64 v[98:99], v[78:79], s[38:39]
	v_add_f64 v[96:97], v[96:97], v[102:103]
	v_fma_f64 v[102:103], s[18:19], v[84:85], v[98:99]
	v_fma_f64 v[98:99], v[84:85], s[18:19], -v[98:99]
	v_add_f64 v[98:99], v[98:99], v[106:107]
	v_mul_f64 v[106:107], v[78:79], s[2:3]
	v_add_f64 v[90:91], v[90:91], v[104:105]
	v_add_f64 v[102:103], v[102:103], v[110:111]
	v_mul_f64 v[104:105], v[86:87], s[18:19]
	v_fma_f64 v[110:111], s[6:7], v[84:85], v[106:107]
	v_fma_f64 v[106:107], v[84:85], s[6:7], -v[106:107]
	v_add_f64 v[100:101], v[100:101], v[108:109]
	v_fma_f64 v[108:109], s[16:17], v[76:77], v[104:105]
	v_fmac_f64_e32 v[104:105], s[38:39], v[76:77]
	v_add_f64 v[106:107], v[106:107], v[116:117]
	v_mul_f64 v[116:117], v[78:79], s[42:43]
	v_add_f64 v[104:105], v[104:105], v[112:113]
	v_add_f64 v[110:111], v[110:111], v[118:119]
	v_mul_f64 v[112:113], v[86:87], s[6:7]
	v_fma_f64 v[118:119], s[30:31], v[84:85], v[116:117]
	v_fma_f64 v[116:117], v[84:85], s[30:31], -v[116:117]
	v_mul_f64 v[78:79], v[78:79], s[40:41]
	v_add_f64 v[108:109], v[108:109], v[114:115]
	v_fma_f64 v[114:115], s[26:27], v[76:77], v[112:113]
	v_fmac_f64_e32 v[112:113], s[2:3], v[76:77]
	v_add_f64 v[116:117], v[116:117], v[124:125]
	v_fma_f64 v[124:125], s[12:13], v[84:85], v[78:79]
	v_fma_f64 v[78:79], v[84:85], s[12:13], -v[78:79]
	v_add_f64 v[112:113], v[112:113], v[120:121]
	v_mul_f64 v[120:121], v[86:87], s[30:31]
	v_mul_f64 v[86:87], v[86:87], s[12:13]
	v_add_f64 v[56:57], v[78:79], v[56:57]
	v_add_f64 v[78:79], v[70:71], v[74:75]
	v_add_f64 v[70:71], v[70:71], -v[74:75]
	v_add_f64 v[114:115], v[114:115], v[122:123]
	v_add_f64 v[118:119], v[118:119], v[126:127]
	v_fma_f64 v[122:123], s[28:29], v[76:77], v[120:121]
	v_fmac_f64_e32 v[120:121], s[42:43], v[76:77]
	v_fma_f64 v[126:127], s[8:9], v[76:77], v[86:87]
	v_fmac_f64_e32 v[86:87], s[40:41], v[76:77]
	v_add_f64 v[76:77], v[68:69], v[72:73]
	v_add_f64 v[68:69], v[68:69], -v[72:73]
	v_mul_f64 v[72:73], v[70:71], s[22:23]
	v_fma_f64 v[74:75], s[24:25], v[76:77], v[72:73]
	v_add_f64 v[74:75], v[74:75], v[82:83]
	v_mul_f64 v[82:83], v[78:79], s[24:25]
	v_fma_f64 v[84:85], s[34:35], v[68:69], v[82:83]
	v_fma_f64 v[72:73], v[76:77], s[24:25], -v[72:73]
	v_fmac_f64_e32 v[82:83], s[22:23], v[68:69]
	v_add_f64 v[72:73], v[72:73], v[80:81]
	v_add_f64 v[80:81], v[82:83], v[88:89]
	v_mul_f64 v[82:83], v[70:71], s[26:27]
	v_add_f64 v[58:59], v[86:87], v[58:59]
	v_fma_f64 v[86:87], s[6:7], v[76:77], v[82:83]
	v_mul_f64 v[88:89], v[78:79], s[6:7]
	v_fma_f64 v[82:83], v[76:77], s[6:7], -v[82:83]
	v_add_f64 v[84:85], v[84:85], v[90:91]
	v_fma_f64 v[90:91], s[2:3], v[68:69], v[88:89]
	v_add_f64 v[82:83], v[82:83], v[92:93]
	v_fmac_f64_e32 v[88:89], s[26:27], v[68:69]
	v_mul_f64 v[92:93], v[70:71], s[8:9]
	v_add_f64 v[86:87], v[86:87], v[94:95]
	v_add_f64 v[88:89], v[88:89], v[96:97]
	v_fma_f64 v[94:95], s[12:13], v[76:77], v[92:93]
	v_mul_f64 v[96:97], v[78:79], s[12:13]
	v_fma_f64 v[92:93], v[76:77], s[12:13], -v[92:93]
	v_add_f64 v[90:91], v[90:91], v[100:101]
	v_fma_f64 v[100:101], s[40:41], v[68:69], v[96:97]
	v_add_f64 v[92:93], v[92:93], v[98:99]
	v_fmac_f64_e32 v[96:97], s[8:9], v[68:69]
	v_mul_f64 v[98:99], v[70:71], s[42:43]
	v_add_f64 v[94:95], v[94:95], v[102:103]
	v_add_f64 v[96:97], v[96:97], v[104:105]
	v_fma_f64 v[102:103], s[30:31], v[76:77], v[98:99]
	v_mul_f64 v[104:105], v[78:79], s[30:31]
	v_fma_f64 v[98:99], v[76:77], s[30:31], -v[98:99]
	v_add_f64 v[142:143], v[142:143], v[150:151]
	v_add_f64 v[100:101], v[100:101], v[108:109]
	v_fma_f64 v[108:109], s[28:29], v[68:69], v[104:105]
	v_add_f64 v[98:99], v[98:99], v[106:107]
	v_fmac_f64_e32 v[104:105], s[42:43], v[68:69]
	v_mul_f64 v[106:107], v[70:71], s[38:39]
	v_add_f64 v[134:135], v[134:135], v[142:143]
	v_add_f64 v[102:103], v[102:103], v[110:111]
	;; [unrolled: 1-line block ×3, first 2 shown]
	v_fma_f64 v[110:111], s[18:19], v[76:77], v[106:107]
	v_mul_f64 v[112:113], v[78:79], s[18:19]
	v_mul_f64 v[78:79], v[78:79], s[20:21]
	v_add_f64 v[138:139], v[138:139], v[146:147]
	v_add_f64 v[136:137], v[136:137], v[144:145]
	;; [unrolled: 1-line block ×5, first 2 shown]
	v_fma_f64 v[118:119], s[36:37], v[68:69], v[78:79]
	v_add_f64 v[130:131], v[130:131], v[138:139]
	v_add_f64 v[128:129], v[128:129], v[136:137]
	;; [unrolled: 1-line block ×3, first 2 shown]
	v_fma_f64 v[106:107], v[76:77], s[18:19], -v[106:107]
	v_mul_f64 v[70:71], v[70:71], s[14:15]
	v_add_f64 v[118:119], v[118:119], v[126:127]
	v_add_f64 v[126:127], v[62:63], v[66:67]
	;; [unrolled: 1-line block ×6, first 2 shown]
	v_fma_f64 v[114:115], s[16:17], v[68:69], v[112:113]
	v_add_f64 v[106:107], v[106:107], v[116:117]
	v_fma_f64 v[116:117], s[20:21], v[76:77], v[70:71]
	v_fmac_f64_e32 v[78:79], s[14:15], v[68:69]
	v_add_f64 v[128:129], v[60:61], -v[64:65]
	v_add_f64 v[130:131], v[62:63], -v[66:67]
	v_mul_f64 v[62:63], v[126:127], s[30:31]
	v_add_f64 v[114:115], v[114:115], v[122:123]
	v_fmac_f64_e32 v[112:113], s[38:39], v[68:69]
	v_add_f64 v[116:117], v[116:117], v[124:125]
	v_fma_f64 v[70:71], v[76:77], s[20:21], -v[70:71]
	v_add_f64 v[122:123], v[78:79], v[58:59]
	v_add_f64 v[124:125], v[60:61], v[64:65]
	v_mul_f64 v[60:61], v[130:131], s[28:29]
	v_fma_f64 v[58:59], s[42:43], v[128:129], v[62:63]
	v_add_f64 v[112:113], v[112:113], v[120:121]
	v_add_f64 v[120:121], v[70:71], v[56:57]
	v_fma_f64 v[56:57], s[30:31], v[124:125], v[60:61]
	v_add_f64 v[58:59], v[58:59], v[84:85]
	v_fma_f64 v[60:61], v[124:125], s[30:31], -v[60:61]
	v_fmac_f64_e32 v[62:63], s[28:29], v[128:129]
	v_mul_f64 v[68:69], v[130:131], s[38:39]
	v_mul_f64 v[76:77], v[130:131], s[22:23]
	v_mul_f64 v[78:79], v[126:127], s[24:25]
	v_mul_f64 v[84:85], v[130:131], s[40:41]
	v_add_f64 v[56:57], v[56:57], v[74:75]
	v_add_f64 v[60:61], v[60:61], v[72:73]
	;; [unrolled: 1-line block ×3, first 2 shown]
	v_fma_f64 v[64:65], s[18:19], v[124:125], v[68:69]
	v_mul_f64 v[70:71], v[126:127], s[18:19]
	v_fma_f64 v[72:73], s[24:25], v[124:125], v[76:77]
	v_fma_f64 v[74:75], s[34:35], v[128:129], v[78:79]
	v_fma_f64 v[76:77], v[124:125], s[24:25], -v[76:77]
	v_fma_f64 v[80:81], s[12:13], v[124:125], v[84:85]
	v_add_f64 v[64:65], v[64:65], v[86:87]
	v_fma_f64 v[66:67], s[16:17], v[128:129], v[70:71]
	v_fma_f64 v[68:69], v[124:125], s[18:19], -v[68:69]
	v_fmac_f64_e32 v[70:71], s[38:39], v[128:129]
	v_add_f64 v[72:73], v[72:73], v[94:95]
	v_add_f64 v[74:75], v[74:75], v[100:101]
	;; [unrolled: 1-line block ×3, first 2 shown]
	v_fmac_f64_e32 v[78:79], s[22:23], v[128:129]
	v_add_f64 v[80:81], v[80:81], v[102:103]
	v_mul_f64 v[86:87], v[126:127], s[12:13]
	v_fma_f64 v[84:85], v[124:125], s[12:13], -v[84:85]
	v_mul_f64 v[92:93], v[130:131], s[14:15]
	v_mul_f64 v[94:95], v[126:127], s[20:21]
	;; [unrolled: 1-line block ×4, first 2 shown]
	v_add_f64 v[66:67], v[66:67], v[90:91]
	v_add_f64 v[68:69], v[68:69], v[82:83]
	;; [unrolled: 1-line block ×4, first 2 shown]
	v_fma_f64 v[82:83], s[8:9], v[128:129], v[86:87]
	v_add_f64 v[84:85], v[84:85], v[98:99]
	v_fmac_f64_e32 v[86:87], s[40:41], v[128:129]
	v_fma_f64 v[88:89], s[20:21], v[124:125], v[92:93]
	v_fma_f64 v[90:91], s[36:37], v[128:129], v[94:95]
	v_fma_f64 v[92:93], v[124:125], s[20:21], -v[92:93]
	v_fmac_f64_e32 v[94:95], s[14:15], v[128:129]
	v_fma_f64 v[96:97], s[6:7], v[124:125], v[100:101]
	v_fma_f64 v[98:99], s[2:3], v[128:129], v[102:103]
	v_fma_f64 v[100:101], v[124:125], s[6:7], -v[100:101]
	v_fmac_f64_e32 v[102:103], s[26:27], v[128:129]
	v_add_f64 v[82:83], v[82:83], v[108:109]
	v_add_f64 v[86:87], v[86:87], v[104:105]
	v_add_f64 v[88:89], v[88:89], v[110:111]
	v_add_f64 v[90:91], v[90:91], v[114:115]
	v_add_f64 v[92:93], v[92:93], v[106:107]
	v_add_f64 v[94:95], v[94:95], v[112:113]
	v_add_f64 v[96:97], v[96:97], v[116:117]
	v_add_f64 v[98:99], v[98:99], v[118:119]
	v_add_f64 v[100:101], v[100:101], v[120:121]
	v_add_f64 v[102:103], v[102:103], v[122:123]
	ds_write_b128 v196, v[52:55]
	ds_write_b128 v196, v[56:59] offset:2704
	ds_write_b128 v196, v[64:67] offset:5408
	ds_write_b128 v196, v[72:75] offset:8112
	ds_write_b128 v196, v[80:83] offset:10816
	ds_write_b128 v196, v[88:91] offset:13520
	ds_write_b128 v196, v[96:99] offset:16224
	ds_write_b128 v196, v[100:103] offset:18928
	ds_write_b128 v196, v[92:95] offset:21632
	ds_write_b128 v196, v[84:87] offset:24336
	ds_write_b128 v196, v[76:79] offset:27040
	ds_write_b128 v196, v[68:71] offset:29744
	ds_write_b128 v196, v[60:63] offset:32448
	s_waitcnt lgkmcnt(0)
	s_barrier
	ds_read_b128 v[52:55], v196
	ds_read_b128 v[56:59], v196 offset:2704
	v_mov_b32_e32 v64, s0
	v_mov_b32_e32 v65, s1
	s_mov_b32 s0, 0xaab49c24
	s_waitcnt lgkmcnt(1)
	v_mul_f64 v[60:61], v[50:51], v[54:55]
	v_mul_f64 v[50:51], v[50:51], v[52:53]
	v_fmac_f64_e32 v[60:61], v[48:49], v[52:53]
	s_mov_b32 s1, 0x3f3dd46b
	v_fma_f64 v[48:49], v[48:49], v[54:55], -v[50:51]
	v_mul_f64 v[62:63], v[48:49], s[0:1]
	v_mad_u64_u32 v[48:49], s[2:3], s4, v201, 0
	v_mov_b32_e32 v50, v49
	v_mov_b32_e32 v199, v200
	v_mad_u64_u32 v[50:51], s[2:3], s5, v201, v[50:51]
	v_mov_b32_e32 v49, v50
	v_lshl_add_u64 v[50:51], v[198:199], 4, v[64:65]
	v_lshl_add_u64 v[52:53], v[48:49], 4, v[50:51]
	s_waitcnt lgkmcnt(0)
	v_mul_f64 v[48:49], v[30:31], v[58:59]
	v_mul_f64 v[30:31], v[30:31], v[56:57]
	v_fmac_f64_e32 v[48:49], v[28:29], v[56:57]
	v_fma_f64 v[28:29], v[28:29], v[58:59], -v[30:31]
	v_mul_f64 v[50:51], v[28:29], s[0:1]
	v_mad_u64_u32 v[56:57], s[2:3], s4, v197, v[52:53]
	ds_read_b128 v[28:31], v196 offset:5408
	s_mul_i32 s2, s5, 0xa90
	v_mul_f64 v[60:61], v[60:61], s[0:1]
	v_mul_f64 v[48:49], v[48:49], s[0:1]
	v_add_u32_e32 v57, s2, v57
	global_store_dwordx4 v[52:53], v[60:63], off
	global_store_dwordx4 v[56:57], v[48:51], off
	ds_read_b128 v[48:51], v196 offset:8112
	s_waitcnt lgkmcnt(1)
	v_mul_f64 v[52:53], v[42:43], v[30:31]
	v_fmac_f64_e32 v[52:53], v[40:41], v[28:29]
	v_mul_f64 v[28:29], v[42:43], v[28:29]
	v_fma_f64 v[28:29], v[40:41], v[30:31], -v[28:29]
	v_mul_f64 v[54:55], v[28:29], s[0:1]
	s_waitcnt lgkmcnt(0)
	v_mul_f64 v[28:29], v[26:27], v[50:51]
	v_mul_f64 v[26:27], v[26:27], v[48:49]
	v_mad_u64_u32 v[40:41], s[6:7], s4, v197, v[56:57]
	v_fmac_f64_e32 v[28:29], v[24:25], v[48:49]
	v_fma_f64 v[24:25], v[24:25], v[50:51], -v[26:27]
	v_add_u32_e32 v41, s2, v41
	v_mul_f64 v[30:31], v[24:25], s[0:1]
	ds_read_b128 v[24:27], v196 offset:10816
	v_mad_u64_u32 v[48:49], s[6:7], s4, v197, v[40:41]
	v_mul_f64 v[52:53], v[52:53], s[0:1]
	v_mul_f64 v[28:29], v[28:29], s[0:1]
	v_add_u32_e32 v49, s2, v49
	global_store_dwordx4 v[40:41], v[52:55], off
	global_store_dwordx4 v[48:49], v[28:31], off
	ds_read_b128 v[28:31], v196 offset:13520
	s_waitcnt lgkmcnt(1)
	v_mul_f64 v[40:41], v[46:47], v[26:27]
	v_fmac_f64_e32 v[40:41], v[44:45], v[24:25]
	v_mul_f64 v[24:25], v[46:47], v[24:25]
	v_fma_f64 v[24:25], v[44:45], v[26:27], -v[24:25]
	v_mul_f64 v[42:43], v[24:25], s[0:1]
	s_waitcnt lgkmcnt(0)
	v_mul_f64 v[24:25], v[22:23], v[30:31]
	v_mul_f64 v[22:23], v[22:23], v[28:29]
	v_mad_u64_u32 v[44:45], s[6:7], s4, v197, v[48:49]
	v_fmac_f64_e32 v[24:25], v[20:21], v[28:29]
	v_fma_f64 v[20:21], v[20:21], v[30:31], -v[22:23]
	v_mul_f64 v[40:41], v[40:41], s[0:1]
	v_add_u32_e32 v45, s2, v45
	v_mul_f64 v[26:27], v[20:21], s[0:1]
	ds_read_b128 v[20:23], v196 offset:16224
	global_store_dwordx4 v[44:45], v[40:43], off
	v_mul_f64 v[24:25], v[24:25], s[0:1]
	s_nop 0
	v_mad_u64_u32 v[40:41], s[6:7], s4, v197, v[44:45]
	v_add_u32_e32 v41, s2, v41
	global_store_dwordx4 v[40:41], v[24:27], off
	ds_read_b128 v[24:27], v196 offset:18928
	s_waitcnt lgkmcnt(1)
	v_mul_f64 v[28:29], v[38:39], v[22:23]
	v_fmac_f64_e32 v[28:29], v[36:37], v[20:21]
	v_mul_f64 v[20:21], v[38:39], v[20:21]
	v_fma_f64 v[20:21], v[36:37], v[22:23], -v[20:21]
	v_mul_f64 v[30:31], v[20:21], s[0:1]
	s_waitcnt lgkmcnt(0)
	v_mul_f64 v[20:21], v[18:19], v[26:27]
	v_mul_f64 v[18:19], v[18:19], v[24:25]
	v_mad_u64_u32 v[36:37], s[6:7], s4, v197, v[40:41]
	v_fmac_f64_e32 v[20:21], v[16:17], v[24:25]
	v_fma_f64 v[16:17], v[16:17], v[26:27], -v[18:19]
	v_mul_f64 v[28:29], v[28:29], s[0:1]
	v_add_u32_e32 v37, s2, v37
	v_mul_f64 v[22:23], v[16:17], s[0:1]
	ds_read_b128 v[16:19], v196 offset:21632
	global_store_dwordx4 v[36:37], v[28:31], off
	v_mul_f64 v[20:21], v[20:21], s[0:1]
	s_nop 0
	v_mad_u64_u32 v[28:29], s[6:7], s4, v197, v[36:37]
	v_add_u32_e32 v29, s2, v29
	global_store_dwordx4 v[28:29], v[20:23], off
	ds_read_b128 v[20:23], v196 offset:24336
	s_waitcnt lgkmcnt(1)
	v_mul_f64 v[24:25], v[34:35], v[18:19]
	v_fmac_f64_e32 v[24:25], v[32:33], v[16:17]
	v_mul_f64 v[16:17], v[34:35], v[16:17]
	v_fma_f64 v[16:17], v[32:33], v[18:19], -v[16:17]
	v_mul_f64 v[26:27], v[16:17], s[0:1]
	v_mad_u64_u32 v[28:29], s[6:7], s4, v197, v[28:29]
	s_waitcnt lgkmcnt(0)
	v_mul_f64 v[16:17], v[14:15], v[22:23]
	v_mul_f64 v[14:15], v[14:15], v[20:21]
	;; [unrolled: 1-line block ×3, first 2 shown]
	v_add_u32_e32 v29, s2, v29
	v_fmac_f64_e32 v[16:17], v[12:13], v[20:21]
	v_fma_f64 v[12:13], v[12:13], v[22:23], -v[14:15]
	global_store_dwordx4 v[28:29], v[24:27], off
	v_mul_f64 v[18:19], v[12:13], s[0:1]
	ds_read_b128 v[12:15], v196 offset:27040
	v_mad_u64_u32 v[24:25], s[6:7], s4, v197, v[28:29]
	v_mul_f64 v[16:17], v[16:17], s[0:1]
	v_add_u32_e32 v25, s2, v25
	global_store_dwordx4 v[24:25], v[16:19], off
	ds_read_b128 v[16:19], v196 offset:29744
	s_waitcnt lgkmcnt(1)
	v_mul_f64 v[20:21], v[2:3], v[14:15]
	v_mul_f64 v[2:3], v[2:3], v[12:13]
	v_fmac_f64_e32 v[20:21], v[0:1], v[12:13]
	v_fma_f64 v[0:1], v[0:1], v[14:15], -v[2:3]
	v_mul_f64 v[22:23], v[0:1], s[0:1]
	s_waitcnt lgkmcnt(0)
	v_mul_f64 v[0:1], v[6:7], v[18:19]
	v_mul_f64 v[2:3], v[6:7], v[16:17]
	v_fmac_f64_e32 v[0:1], v[4:5], v[16:17]
	v_fma_f64 v[2:3], v[4:5], v[18:19], -v[2:3]
	ds_read_b128 v[4:7], v196 offset:32448
	v_mad_u64_u32 v[12:13], s[6:7], s4, v197, v[24:25]
	v_mul_f64 v[20:21], v[20:21], s[0:1]
	v_add_u32_e32 v13, s2, v13
	global_store_dwordx4 v[12:13], v[20:23], off
	v_mad_u64_u32 v[12:13], s[6:7], s4, v197, v[12:13]
	v_mul_f64 v[0:1], v[0:1], s[0:1]
	v_mul_f64 v[2:3], v[2:3], s[0:1]
	v_add_u32_e32 v13, s2, v13
	global_store_dwordx4 v[12:13], v[0:3], off
	s_waitcnt lgkmcnt(0)
	s_nop 0
	v_mul_f64 v[0:1], v[10:11], v[6:7]
	v_mul_f64 v[2:3], v[10:11], v[4:5]
	v_fmac_f64_e32 v[0:1], v[8:9], v[4:5]
	v_fma_f64 v[2:3], v[8:9], v[6:7], -v[2:3]
	v_mul_f64 v[0:1], v[0:1], s[0:1]
	v_mul_f64 v[2:3], v[2:3], s[0:1]
	v_mad_u64_u32 v[4:5], s[0:1], s4, v197, v[12:13]
	v_add_u32_e32 v5, s2, v5
	global_store_dwordx4 v[4:5], v[0:3], off
.LBB0_2:
	s_endpgm
	.section	.rodata,"a",@progbits
	.p2align	6, 0x0
	.amdhsa_kernel bluestein_single_back_len2197_dim1_dp_op_CI_CI
		.amdhsa_group_segment_fixed_size 35152
		.amdhsa_private_segment_fixed_size 0
		.amdhsa_kernarg_size 104
		.amdhsa_user_sgpr_count 2
		.amdhsa_user_sgpr_dispatch_ptr 0
		.amdhsa_user_sgpr_queue_ptr 0
		.amdhsa_user_sgpr_kernarg_segment_ptr 1
		.amdhsa_user_sgpr_dispatch_id 0
		.amdhsa_user_sgpr_kernarg_preload_length 0
		.amdhsa_user_sgpr_kernarg_preload_offset 0
		.amdhsa_user_sgpr_private_segment_size 0
		.amdhsa_uses_dynamic_stack 0
		.amdhsa_enable_private_segment 0
		.amdhsa_system_sgpr_workgroup_id_x 1
		.amdhsa_system_sgpr_workgroup_id_y 0
		.amdhsa_system_sgpr_workgroup_id_z 0
		.amdhsa_system_sgpr_workgroup_info 0
		.amdhsa_system_vgpr_workitem_id 0
		.amdhsa_next_free_vgpr 256
		.amdhsa_next_free_sgpr 44
		.amdhsa_accum_offset 256
		.amdhsa_reserve_vcc 1
		.amdhsa_float_round_mode_32 0
		.amdhsa_float_round_mode_16_64 0
		.amdhsa_float_denorm_mode_32 3
		.amdhsa_float_denorm_mode_16_64 3
		.amdhsa_dx10_clamp 1
		.amdhsa_ieee_mode 1
		.amdhsa_fp16_overflow 0
		.amdhsa_tg_split 0
		.amdhsa_exception_fp_ieee_invalid_op 0
		.amdhsa_exception_fp_denorm_src 0
		.amdhsa_exception_fp_ieee_div_zero 0
		.amdhsa_exception_fp_ieee_overflow 0
		.amdhsa_exception_fp_ieee_underflow 0
		.amdhsa_exception_fp_ieee_inexact 0
		.amdhsa_exception_int_div_zero 0
	.end_amdhsa_kernel
	.text
.Lfunc_end0:
	.size	bluestein_single_back_len2197_dim1_dp_op_CI_CI, .Lfunc_end0-bluestein_single_back_len2197_dim1_dp_op_CI_CI
                                        ; -- End function
	.section	.AMDGPU.csdata,"",@progbits
; Kernel info:
; codeLenInByte = 25436
; NumSgprs: 50
; NumVgprs: 256
; NumAgprs: 0
; TotalNumVgprs: 256
; ScratchSize: 0
; MemoryBound: 0
; FloatMode: 240
; IeeeMode: 1
; LDSByteSize: 35152 bytes/workgroup (compile time only)
; SGPRBlocks: 6
; VGPRBlocks: 31
; NumSGPRsForWavesPerEU: 50
; NumVGPRsForWavesPerEU: 256
; AccumOffset: 256
; Occupancy: 2
; WaveLimiterHint : 1
; COMPUTE_PGM_RSRC2:SCRATCH_EN: 0
; COMPUTE_PGM_RSRC2:USER_SGPR: 2
; COMPUTE_PGM_RSRC2:TRAP_HANDLER: 0
; COMPUTE_PGM_RSRC2:TGID_X_EN: 1
; COMPUTE_PGM_RSRC2:TGID_Y_EN: 0
; COMPUTE_PGM_RSRC2:TGID_Z_EN: 0
; COMPUTE_PGM_RSRC2:TIDIG_COMP_CNT: 0
; COMPUTE_PGM_RSRC3_GFX90A:ACCUM_OFFSET: 63
; COMPUTE_PGM_RSRC3_GFX90A:TG_SPLIT: 0
	.text
	.p2alignl 6, 3212836864
	.fill 256, 4, 3212836864
	.type	__hip_cuid_457eb4512a1f15e6,@object ; @__hip_cuid_457eb4512a1f15e6
	.section	.bss,"aw",@nobits
	.globl	__hip_cuid_457eb4512a1f15e6
__hip_cuid_457eb4512a1f15e6:
	.byte	0                               ; 0x0
	.size	__hip_cuid_457eb4512a1f15e6, 1

	.ident	"AMD clang version 19.0.0git (https://github.com/RadeonOpenCompute/llvm-project roc-6.4.0 25133 c7fe45cf4b819c5991fe208aaa96edf142730f1d)"
	.section	".note.GNU-stack","",@progbits
	.addrsig
	.addrsig_sym __hip_cuid_457eb4512a1f15e6
	.amdgpu_metadata
---
amdhsa.kernels:
  - .agpr_count:     0
    .args:
      - .actual_access:  read_only
        .address_space:  global
        .offset:         0
        .size:           8
        .value_kind:     global_buffer
      - .actual_access:  read_only
        .address_space:  global
        .offset:         8
        .size:           8
        .value_kind:     global_buffer
      - .actual_access:  read_only
        .address_space:  global
        .offset:         16
        .size:           8
        .value_kind:     global_buffer
      - .actual_access:  read_only
        .address_space:  global
        .offset:         24
        .size:           8
        .value_kind:     global_buffer
      - .actual_access:  read_only
        .address_space:  global
        .offset:         32
        .size:           8
        .value_kind:     global_buffer
      - .offset:         40
        .size:           8
        .value_kind:     by_value
      - .address_space:  global
        .offset:         48
        .size:           8
        .value_kind:     global_buffer
      - .address_space:  global
        .offset:         56
        .size:           8
        .value_kind:     global_buffer
      - .address_space:  global
        .offset:         64
        .size:           8
        .value_kind:     global_buffer
      - .address_space:  global
        .offset:         72
        .size:           8
        .value_kind:     global_buffer
      - .offset:         80
        .size:           4
        .value_kind:     by_value
      - .address_space:  global
        .offset:         88
        .size:           8
        .value_kind:     global_buffer
      - .address_space:  global
        .offset:         96
        .size:           8
        .value_kind:     global_buffer
    .group_segment_fixed_size: 35152
    .kernarg_segment_align: 8
    .kernarg_segment_size: 104
    .language:       OpenCL C
    .language_version:
      - 2
      - 0
    .max_flat_workgroup_size: 169
    .name:           bluestein_single_back_len2197_dim1_dp_op_CI_CI
    .private_segment_fixed_size: 0
    .sgpr_count:     50
    .sgpr_spill_count: 0
    .symbol:         bluestein_single_back_len2197_dim1_dp_op_CI_CI.kd
    .uniform_work_group_size: 1
    .uses_dynamic_stack: false
    .vgpr_count:     256
    .vgpr_spill_count: 0
    .wavefront_size: 64
amdhsa.target:   amdgcn-amd-amdhsa--gfx950
amdhsa.version:
  - 1
  - 2
...

	.end_amdgpu_metadata
